;; amdgpu-corpus repo=ROCm/rocSPARSE kind=compiled arch=gfx950 opt=O3
	.amdgcn_target "amdgcn-amd-amdhsa--gfx950"
	.amdhsa_code_object_version 6
	.section	.text._ZN9rocsparseL19gpsv_strided_gatherILj256EfEEviiiPKT0_PS1_,"axG",@progbits,_ZN9rocsparseL19gpsv_strided_gatherILj256EfEEviiiPKT0_PS1_,comdat
	.globl	_ZN9rocsparseL19gpsv_strided_gatherILj256EfEEviiiPKT0_PS1_ ; -- Begin function _ZN9rocsparseL19gpsv_strided_gatherILj256EfEEviiiPKT0_PS1_
	.p2align	8
	.type	_ZN9rocsparseL19gpsv_strided_gatherILj256EfEEviiiPKT0_PS1_,@function
_ZN9rocsparseL19gpsv_strided_gatherILj256EfEEviiiPKT0_PS1_: ; @_ZN9rocsparseL19gpsv_strided_gatherILj256EfEEviiiPKT0_PS1_
; %bb.0:
	s_load_dword s3, s[0:1], 0x2c
	s_load_dwordx4 s[4:7], s[0:1], 0x0
	s_waitcnt lgkmcnt(0)
	s_and_b32 s3, s3, 0xffff
	s_mul_i32 s7, s2, s3
	s_cmp_gt_i32 s4, 0
	v_add_u32_e32 v2, s7, v0
	v_cmp_gt_i32_e32 vcc, s5, v2
	s_cselect_b64 s[2:3], -1, 0
	s_and_b64 s[2:3], vcc, s[2:3]
	s_and_saveexec_b64 s[8:9], s[2:3]
	s_cbranch_execz .LBB0_10
; %bb.1:
	s_load_dwordx4 s[0:3], s[0:1], 0x10
	s_cmp_lt_u32 s4, 6
	s_cselect_b64 s[10:11], -1, 0
	s_and_b64 vcc, exec, s[10:11]
	s_cbranch_vccnz .LBB0_6
; %bb.2:
	s_cmp_eq_u32 s6, 1
	s_cselect_b64 s[8:9], -1, 0
	s_cmp_eq_u32 s5, 1
	v_add3_u32 v1, s4, -1, v2
	s_cselect_b64 s[10:11], -1, 0
	v_cmp_ge_i32_e32 vcc, v1, v2
	s_and_b64 s[8:9], s[8:9], s[10:11]
	s_and_b64 s[12:13], s[8:9], vcc
	s_mov_b64 s[10:11], -1
	v_mov_b32_e32 v1, 0
	s_and_saveexec_b64 s[8:9], s[12:13]
	s_cbranch_execz .LBB0_7
; %bb.3:
	s_and_b32 s10, s4, 0x7ffffffe
	s_mov_b32 s11, s10
.LBB0_4:                                ; =>This Inner Loop Header: Depth=1
	v_ashrrev_i32_e32 v3, 31, v2
	v_lshlrev_b64 v[4:5], 2, v[2:3]
	s_waitcnt lgkmcnt(0)
	v_lshl_add_u64 v[6:7], s[0:1], 0, v[4:5]
	global_load_dwordx2 v[6:7], v[6:7], off
	s_add_i32 s11, s11, -2
	s_cmp_lg_u32 s11, 0
	v_lshl_add_u64 v[4:5], s[2:3], 0, v[4:5]
	v_add_u32_e32 v2, 2, v2
	s_waitcnt vmcnt(0)
	global_store_dwordx2 v[4:5], v[6:7], off
	s_cbranch_scc1 .LBB0_4
; %bb.5:
	s_cmp_lg_u32 s4, s10
	s_cselect_b64 s[12:13], -1, 0
	v_mov_b32_e32 v1, s10
	s_orn2_b64 s[10:11], s[12:13], exec
	s_or_b64 exec, exec, s[8:9]
	s_and_b64 exec, exec, s[10:11]
	s_cbranch_execnz .LBB0_8
	s_branch .LBB0_10
.LBB0_6:
	v_mov_b32_e32 v1, 0
	s_and_b64 exec, exec, s[10:11]
	s_cbranch_execnz .LBB0_8
	s_branch .LBB0_10
.LBB0_7:
	s_or_b64 exec, exec, s[8:9]
	s_and_b64 exec, exec, s[10:11]
	s_cbranch_execz .LBB0_10
.LBB0_8:
	v_sub_u32_e32 v4, s4, v1
	v_mul_lo_u32 v2, v1, s5
	v_mul_lo_u32 v1, v1, s6
	v_add3_u32 v2, v0, v2, s7
	v_add3_u32 v0, v0, v1, s7
	s_mov_b64 s[8:9], 0
.LBB0_9:                                ; =>This Inner Loop Header: Depth=1
	v_ashrrev_i32_e32 v1, 31, v0
	s_waitcnt lgkmcnt(0)
	v_lshl_add_u64 v[6:7], v[0:1], 2, s[0:1]
	global_load_dword v1, v[6:7], off
	v_add_u32_e32 v4, -1, v4
	v_ashrrev_i32_e32 v3, 31, v2
	v_cmp_eq_u32_e32 vcc, 0, v4
	v_lshl_add_u64 v[6:7], v[2:3], 2, s[2:3]
	v_add_u32_e32 v2, s5, v2
	s_or_b64 s[8:9], vcc, s[8:9]
	v_add_u32_e32 v0, s6, v0
	s_waitcnt vmcnt(0)
	global_store_dword v[6:7], v1, off
	s_andn2_b64 exec, exec, s[8:9]
	s_cbranch_execnz .LBB0_9
.LBB0_10:
	s_endpgm
	.section	.rodata,"a",@progbits
	.p2align	6, 0x0
	.amdhsa_kernel _ZN9rocsparseL19gpsv_strided_gatherILj256EfEEviiiPKT0_PS1_
		.amdhsa_group_segment_fixed_size 0
		.amdhsa_private_segment_fixed_size 0
		.amdhsa_kernarg_size 288
		.amdhsa_user_sgpr_count 2
		.amdhsa_user_sgpr_dispatch_ptr 0
		.amdhsa_user_sgpr_queue_ptr 0
		.amdhsa_user_sgpr_kernarg_segment_ptr 1
		.amdhsa_user_sgpr_dispatch_id 0
		.amdhsa_user_sgpr_kernarg_preload_length 0
		.amdhsa_user_sgpr_kernarg_preload_offset 0
		.amdhsa_user_sgpr_private_segment_size 0
		.amdhsa_uses_dynamic_stack 0
		.amdhsa_enable_private_segment 0
		.amdhsa_system_sgpr_workgroup_id_x 1
		.amdhsa_system_sgpr_workgroup_id_y 0
		.amdhsa_system_sgpr_workgroup_id_z 0
		.amdhsa_system_sgpr_workgroup_info 0
		.amdhsa_system_vgpr_workitem_id 0
		.amdhsa_next_free_vgpr 8
		.amdhsa_next_free_sgpr 14
		.amdhsa_accum_offset 8
		.amdhsa_reserve_vcc 1
		.amdhsa_float_round_mode_32 0
		.amdhsa_float_round_mode_16_64 0
		.amdhsa_float_denorm_mode_32 3
		.amdhsa_float_denorm_mode_16_64 3
		.amdhsa_dx10_clamp 1
		.amdhsa_ieee_mode 1
		.amdhsa_fp16_overflow 0
		.amdhsa_tg_split 0
		.amdhsa_exception_fp_ieee_invalid_op 0
		.amdhsa_exception_fp_denorm_src 0
		.amdhsa_exception_fp_ieee_div_zero 0
		.amdhsa_exception_fp_ieee_overflow 0
		.amdhsa_exception_fp_ieee_underflow 0
		.amdhsa_exception_fp_ieee_inexact 0
		.amdhsa_exception_int_div_zero 0
	.end_amdhsa_kernel
	.section	.text._ZN9rocsparseL19gpsv_strided_gatherILj256EfEEviiiPKT0_PS1_,"axG",@progbits,_ZN9rocsparseL19gpsv_strided_gatherILj256EfEEviiiPKT0_PS1_,comdat
.Lfunc_end0:
	.size	_ZN9rocsparseL19gpsv_strided_gatherILj256EfEEviiiPKT0_PS1_, .Lfunc_end0-_ZN9rocsparseL19gpsv_strided_gatherILj256EfEEviiiPKT0_PS1_
                                        ; -- End function
	.set _ZN9rocsparseL19gpsv_strided_gatherILj256EfEEviiiPKT0_PS1_.num_vgpr, 8
	.set _ZN9rocsparseL19gpsv_strided_gatherILj256EfEEviiiPKT0_PS1_.num_agpr, 0
	.set _ZN9rocsparseL19gpsv_strided_gatherILj256EfEEviiiPKT0_PS1_.numbered_sgpr, 14
	.set _ZN9rocsparseL19gpsv_strided_gatherILj256EfEEviiiPKT0_PS1_.num_named_barrier, 0
	.set _ZN9rocsparseL19gpsv_strided_gatherILj256EfEEviiiPKT0_PS1_.private_seg_size, 0
	.set _ZN9rocsparseL19gpsv_strided_gatherILj256EfEEviiiPKT0_PS1_.uses_vcc, 1
	.set _ZN9rocsparseL19gpsv_strided_gatherILj256EfEEviiiPKT0_PS1_.uses_flat_scratch, 0
	.set _ZN9rocsparseL19gpsv_strided_gatherILj256EfEEviiiPKT0_PS1_.has_dyn_sized_stack, 0
	.set _ZN9rocsparseL19gpsv_strided_gatherILj256EfEEviiiPKT0_PS1_.has_recursion, 0
	.set _ZN9rocsparseL19gpsv_strided_gatherILj256EfEEviiiPKT0_PS1_.has_indirect_call, 0
	.section	.AMDGPU.csdata,"",@progbits
; Kernel info:
; codeLenInByte = 396
; TotalNumSgprs: 20
; NumVgprs: 8
; NumAgprs: 0
; TotalNumVgprs: 8
; ScratchSize: 0
; MemoryBound: 0
; FloatMode: 240
; IeeeMode: 1
; LDSByteSize: 0 bytes/workgroup (compile time only)
; SGPRBlocks: 2
; VGPRBlocks: 0
; NumSGPRsForWavesPerEU: 20
; NumVGPRsForWavesPerEU: 8
; AccumOffset: 8
; Occupancy: 8
; WaveLimiterHint : 0
; COMPUTE_PGM_RSRC2:SCRATCH_EN: 0
; COMPUTE_PGM_RSRC2:USER_SGPR: 2
; COMPUTE_PGM_RSRC2:TRAP_HANDLER: 0
; COMPUTE_PGM_RSRC2:TGID_X_EN: 1
; COMPUTE_PGM_RSRC2:TGID_Y_EN: 0
; COMPUTE_PGM_RSRC2:TGID_Z_EN: 0
; COMPUTE_PGM_RSRC2:TIDIG_COMP_CNT: 0
; COMPUTE_PGM_RSRC3_GFX90A:ACCUM_OFFSET: 1
; COMPUTE_PGM_RSRC3_GFX90A:TG_SPLIT: 0
	.section	.text._ZN9rocsparseL44gpsv_interleaved_batch_householder_qr_kernelILj256EfEEviiiPT0_S2_S2_S2_S2_S2_S2_S2_S2_,"axG",@progbits,_ZN9rocsparseL44gpsv_interleaved_batch_householder_qr_kernelILj256EfEEviiiPT0_S2_S2_S2_S2_S2_S2_S2_S2_,comdat
	.globl	_ZN9rocsparseL44gpsv_interleaved_batch_householder_qr_kernelILj256EfEEviiiPT0_S2_S2_S2_S2_S2_S2_S2_S2_ ; -- Begin function _ZN9rocsparseL44gpsv_interleaved_batch_householder_qr_kernelILj256EfEEviiiPT0_S2_S2_S2_S2_S2_S2_S2_S2_
	.p2align	8
	.type	_ZN9rocsparseL44gpsv_interleaved_batch_householder_qr_kernelILj256EfEEviiiPT0_S2_S2_S2_S2_S2_S2_S2_S2_,@function
_ZN9rocsparseL44gpsv_interleaved_batch_householder_qr_kernelILj256EfEEviiiPT0_S2_S2_S2_S2_S2_S2_S2_S2_: ; @_ZN9rocsparseL44gpsv_interleaved_batch_householder_qr_kernelILj256EfEEviiiPT0_S2_S2_S2_S2_S2_S2_S2_S2_
; %bb.0:
	s_load_dword s3, s[0:1], 0x64
	s_load_dwordx4 s[12:15], s[0:1], 0x0
	s_waitcnt lgkmcnt(0)
	s_and_b32 s3, s3, 0xffff
	s_mul_i32 s15, s2, s3
	v_add_u32_e32 v1, s15, v0
	v_cmp_gt_i32_e32 vcc, s13, v1
	s_and_saveexec_b64 s[2:3], vcc
	s_cbranch_execz .LBB1_24
; %bb.1:
	s_load_dwordx2 s[10:11], s[0:1], 0x50
	s_load_dwordx4 s[16:19], s[0:1], 0x40
	s_load_dwordx4 s[20:23], s[0:1], 0x20
	s_load_dwordx2 s[24:25], s[0:1], 0x30
	s_cmp_lt_i32 s12, 2
	s_cbranch_scc1 .LBB1_11
; %bb.2:
	s_load_dwordx2 s[26:27], s[0:1], 0x18
	s_add_i32 s33, s12, -2
	s_cmp_eq_u32 s33, 0
	s_mov_b32 s2, 0
	s_cbranch_scc1 .LBB1_8
; %bb.3:
	s_load_dwordx2 s[28:29], s[0:1], 0x10
	v_add_u32_e32 v22, s13, v0
	v_lshl_add_u32 v23, s13, 1, v0
	v_lshl_add_u32 v24, s14, 1, v0
	v_add_u32_e32 v25, s14, v0
	s_mov_b32 s34, 0
	s_mov_b32 s35, 0xf800000
	v_mov_b32_e32 v26, 0x260
	v_mov_b32_e32 v27, v0
	;; [unrolled: 1-line block ×3, first 2 shown]
	s_branch .LBB1_5
.LBB1_4:                                ;   in Loop: Header=BB1_5 Depth=1
	s_or_b64 exec, exec, s[30:31]
	s_add_i32 s34, s34, 1
	v_add_u32_e32 v28, s13, v28
	v_add_u32_e32 v22, s13, v22
	;; [unrolled: 1-line block ×5, first 2 shown]
	s_cmp_eq_u32 s33, s34
	v_add_u32_e32 v27, s14, v27
	s_cbranch_scc1 .LBB1_7
.LBB1_5:                                ; =>This Inner Loop Header: Depth=1
	v_add_u32_e32 v6, s15, v24
	v_add_u32_e32 v8, s15, v25
	v_ashrrev_i32_e32 v7, 31, v6
	v_ashrrev_i32_e32 v9, 31, v8
	s_waitcnt lgkmcnt(0)
	v_lshl_add_u64 v[4:5], v[6:7], 2, s[28:29]
	v_lshl_add_u64 v[2:3], v[8:9], 2, s[26:27]
	global_load_dword v29, v[4:5], off
	global_load_dword v30, v[2:3], off
	s_waitcnt vmcnt(1)
	v_mul_f32_e32 v31, v29, v29
	s_waitcnt vmcnt(0)
	v_fmac_f32_e32 v31, v30, v30
	v_cmp_neq_f32_e32 vcc, 0, v31
	s_and_saveexec_b64 s[30:31], vcc
	s_cbranch_execz .LBB1_4
; %bb.6:                                ;   in Loop: Header=BB1_5 Depth=1
	v_add_u32_e32 v10, s15, v27
	v_ashrrev_i32_e32 v11, 31, v10
	v_lshlrev_b64 v[18:19], 2, v[10:11]
	v_lshl_add_u64 v[16:17], s[20:21], 0, v[18:19]
	global_load_dword v46, v[16:17], off
	v_add_u32_e32 v32, s15, v28
	v_ashrrev_i32_e32 v33, 31, v32
	v_lshlrev_b64 v[20:21], 2, v[8:9]
	v_lshlrev_b64 v[32:33], 2, v[32:33]
	;; [unrolled: 1-line block ×3, first 2 shown]
	v_lshl_add_u64 v[8:9], s[20:21], 0, v[20:21]
	v_lshl_add_u64 v[34:35], s[16:17], 0, v[32:33]
	;; [unrolled: 1-line block ×4, first 2 shown]
	global_load_dword v47, v[8:9], off
	global_load_dword v48, v[6:7], off
	;; [unrolled: 1-line block ×4, first 2 shown]
	v_lshl_add_u64 v[36:37], s[22:23], 0, v[18:19]
	v_lshl_add_u64 v[10:11], s[26:27], 0, v[14:15]
	global_load_dword v51, v[36:37], off
	v_lshl_add_u64 v[20:21], s[22:23], 0, v[20:21]
	v_lshl_add_u64 v[18:19], s[24:25], 0, v[18:19]
	s_waitcnt vmcnt(5)
	v_fma_f32 v38, v46, v46, v31
	v_mul_f32_e32 v39, 0x4f800000, v38
	v_cmp_gt_f32_e32 vcc, s35, v38
	v_cmp_lt_f32_e64 s[2:3], 0, v46
	s_nop 0
	v_cndmask_b32_e32 v38, v38, v39, vcc
	v_sqrt_f32_e32 v39, v38
	v_cmp_class_f32_e64 s[4:5], v38, v26
	v_add_u32_e32 v40, -1, v39
	v_add_u32_e32 v41, 1, v39
	v_fma_f32 v42, -v40, v39, v38
	v_fma_f32 v43, -v41, v39, v38
	v_cmp_ge_f32_e64 s[6:7], 0, v42
	v_cmp_lt_f32_e64 s[8:9], 0, v43
	s_nop 0
	v_cndmask_b32_e64 v39, v39, v40, s[6:7]
	v_cndmask_b32_e64 v39, v39, v41, s[8:9]
	v_mul_f32_e32 v40, 0x37800000, v39
	v_cndmask_b32_e32 v39, v39, v40, vcc
	v_cndmask_b32_e64 v38, v39, v38, s[4:5]
	v_cndmask_b32_e64 v38, -v38, v38, s[2:3]
	v_add_f32_e32 v52, v46, v38
	v_div_scale_f32 v38, s[2:3], v52, v52, v30
	v_mul_f32_e32 v42, v52, v52
	v_div_scale_f32 v40, s[2:3], v52, v52, v29
	v_fmac_f32_e32 v31, v52, v52
	v_rcp_f32_e32 v43, v38
	v_add_f32_e32 v45, v42, v42
	v_rcp_f32_e32 v44, v40
	v_div_scale_f32 v42, s[4:5], v31, v31, v45
	v_rcp_f32_e32 v53, v42
	v_fma_f32 v54, -v38, v43, 1.0
	v_div_scale_f32 v39, vcc, v30, v52, v30
	v_fma_f32 v55, -v40, v44, 1.0
	v_fmac_f32_e32 v43, v54, v43
	v_div_scale_f32 v41, s[2:3], v29, v52, v29
	v_fmac_f32_e32 v44, v55, v44
	v_mul_f32_e32 v54, v39, v43
	v_fma_f32 v56, -v42, v53, 1.0
	v_mul_f32_e32 v55, v41, v44
	v_fmac_f32_e32 v53, v56, v53
	v_fma_f32 v56, -v38, v54, v39
	v_fmac_f32_e32 v54, v56, v43
	v_fma_f32 v56, -v40, v55, v41
	v_fmac_f32_e32 v55, v56, v44
	global_load_dword v56, v[10:11], off
	v_div_scale_f32 v57, s[4:5], v45, v31, v45
	v_fma_f32 v38, -v38, v54, v39
	v_fma_f32 v39, -v40, v55, v41
	v_mul_f32_e32 v41, v57, v53
	v_div_fmas_f32 v54, v38, v43, v54
	v_fma_f32 v38, -v42, v41, v57
	v_fmac_f32_e32 v41, v38, v53
	s_mov_b64 vcc, s[2:3]
	v_div_fmas_f32 v55, v39, v44, v55
	v_add_u32_e32 v40, s15, v22
	v_fma_f32 v42, -v42, v41, v57
	s_mov_b64 vcc, s[4:5]
	v_div_fixup_f32 v54, v54, v52, v30
	v_div_fmas_f32 v44, v42, v53, v41
	v_ashrrev_i32_e32 v41, 31, v40
	v_div_fixup_f32 v52, v55, v52, v29
	s_waitcnt vmcnt(2)
	v_fma_f32 v55, v54, v49, v50
	v_lshlrev_b64 v[40:41], 2, v[40:41]
	v_div_fixup_f32 v53, v44, v31, v45
	v_fmac_f32_e32 v55, v52, v48
	v_lshl_add_u64 v[44:45], s[16:17], 0, v[40:41]
	v_fma_f32 v31, -v55, v53, v50
	global_load_dword v57, v[44:45], off
	v_lshl_add_u64 v[42:43], s[20:21], 0, v[14:15]
	global_store_dword v[34:35], v31, off
	v_lshl_add_u64 v[34:35], s[10:11], 0, v[40:41]
	v_fma_f32 v40, v54, v30, v46
	v_fmac_f32_e32 v40, v52, v29
	v_fma_f32 v29, -v40, v53, v46
	s_waitcnt vmcnt(3)
	v_fma_f32 v46, v54, v47, v51
	global_load_dword v50, v[20:21], off
	global_load_dword v58, v[42:43], off
	v_add_u32_e32 v38, s15, v23
	global_store_dword v[16:17], v29, off
	v_lshl_add_u64 v[30:31], s[18:19], 0, v[32:33]
	global_load_dword v40, v[34:35], off
	global_load_dword v29, v[18:19], off
	;; [unrolled: 1-line block ×3, first 2 shown]
	v_ashrrev_i32_e32 v39, 31, v38
	v_lshl_add_u64 v[32:33], s[10:11], 0, v[32:33]
	v_lshl_add_u64 v[14:15], s[24:25], 0, v[14:15]
	s_waitcnt vmcnt(8)
	v_fmac_f32_e32 v46, v52, v56
	v_fma_f32 v16, -v46, v53, v51
	global_store_dword v[36:37], v16, off
	global_load_dword v36, v[32:33], off
	v_lshl_add_u64 v[16:17], v[38:39], 2, s[10:11]
	global_load_dword v37, v[14:15], off
	global_load_dword v38, v[16:17], off
	v_mul_f32_e32 v46, v46, v53
	global_store_dword v[2:3], v54, off
	global_load_dword v2, v[44:45], off
	v_fma_f32 v3, v54, v54, 1.0
	global_store_dword v[4:5], v52, off
	v_fmac_f32_e32 v3, v52, v52
	v_mul_f32_e32 v51, v55, v53
	s_waitcnt vmcnt(8)
	v_fma_f32 v4, v54, v50, v29
	s_waitcnt vmcnt(7)
	v_fma_f32 v5, v54, v57, v41
	v_fmac_f32_e32 v4, v52, v58
	v_fma_f32 v29, -v4, v53, v29
	v_mul_f32_e32 v4, v4, v53
	global_store_dword v[18:19], v29, off
	v_fma_f32 v29, -v46, v54, v47
	v_div_scale_f32 v18, vcc, 2.0, v3, 2.0
	s_waitcnt vmcnt(6)
	v_fma_f32 v39, v54, v40, v36
	s_waitcnt vmcnt(5)
	v_fmac_f32_e32 v5, v52, v37
	v_fma_f32 v41, -v5, v53, v41
	v_mul_f32_e32 v5, v5, v53
	v_div_scale_f32 v53, s[2:3], v3, v3, 2.0
	v_rcp_f32_e32 v19, v53
	global_store_dword v[30:31], v41, off
	v_fma_f32 v30, -v4, v54, v50
	v_fma_f32 v4, -v4, v52, v58
	;; [unrolled: 1-line block ×6, first 2 shown]
	global_store_dword v[8:9], v29, off
	global_store_dword v[20:21], v30, off
	;; [unrolled: 1-line block ×7, first 2 shown]
	v_fma_f32 v4, -v53, v19, 1.0
	v_fmac_f32_e32 v19, v4, v19
	v_mul_f32_e32 v4, v18, v19
	v_fma_f32 v6, -v53, v4, v18
	v_fmac_f32_e32 v4, v6, v19
	v_fma_f32 v6, -v53, v4, v18
	v_div_fmas_f32 v4, v6, v19, v4
	s_waitcnt vmcnt(12)
	v_fmac_f32_e32 v39, v52, v38
	v_div_fixup_f32 v3, v4, v3, 2.0
	v_mul_f32_e32 v4, v39, v3
	v_fma_f32 v3, -v39, v3, v36
	global_store_dword v[32:33], v3, off
	v_fma_f32 v3, -v54, v4, v40
	s_waitcnt vmcnt(11)
	v_fma_f32 v2, -v5, v54, v2
	v_fma_f32 v4, -v52, v4, v38
	global_store_dword v[34:35], v3, off
	global_store_dword v[44:45], v2, off
	;; [unrolled: 1-line block ×3, first 2 shown]
	s_branch .LBB1_4
.LBB1_7:
	s_mov_b32 s2, s33
.LBB1_8:
	s_mul_i32 s3, s2, s14
	v_add_u32_e32 v6, s3, v1
	v_add_u32_e32 v4, s14, v6
	v_ashrrev_i32_e32 v5, 31, v4
	s_waitcnt lgkmcnt(0)
	v_lshl_add_u64 v[2:3], v[4:5], 2, s[26:27]
	global_load_dword v8, v[2:3], off
	s_waitcnt vmcnt(0)
	v_fma_f32 v9, v8, v8, 0
	v_cmp_neq_f32_e32 vcc, 0, v9
	s_and_saveexec_b64 s[6:7], vcc
	s_cbranch_execz .LBB1_10
; %bb.9:
	v_ashrrev_i32_e32 v7, 31, v6
	v_lshlrev_b64 v[6:7], 2, v[6:7]
	v_lshl_add_u64 v[10:11], s[20:21], 0, v[6:7]
	global_load_dword v28, v[10:11], off
	s_mul_i32 s2, s2, s13
	v_add_u32_e32 v12, s2, v1
	v_lshlrev_b64 v[4:5], 2, v[4:5]
	v_ashrrev_i32_e32 v13, 31, v12
	v_lshl_add_u64 v[14:15], s[20:21], 0, v[4:5]
	v_add_u32_e32 v18, s13, v12
	v_lshlrev_b64 v[12:13], 2, v[12:13]
	v_lshl_add_u64 v[16:17], s[22:23], 0, v[4:5]
	v_lshl_add_u64 v[4:5], s[24:25], 0, v[4:5]
	global_load_dword v1, v[14:15], off
	global_load_dword v30, v[4:5], off
	v_lshl_add_u64 v[20:21], s[16:17], 0, v[12:13]
	global_load_dword v31, v[20:21], off
	global_load_dword v32, v[16:17], off
	s_mov_b32 s3, 0xf800000
	v_mov_b32_e32 v29, 0x260
	v_lshl_add_u64 v[22:23], s[22:23], 0, v[6:7]
	v_lshl_add_u64 v[6:7], s[24:25], 0, v[6:7]
	v_ashrrev_i32_e32 v19, 31, v18
	global_load_dword v33, v[22:23], off
	global_load_dword v34, v[6:7], off
	v_lshlrev_b64 v[18:19], 2, v[18:19]
	v_lshl_add_u64 v[24:25], s[18:19], 0, v[12:13]
	v_lshl_add_u64 v[12:13], s[10:11], 0, v[12:13]
	;; [unrolled: 1-line block ×4, first 2 shown]
	global_load_dword v35, v[24:25], off
	global_load_dword v38, v[12:13], off
	;; [unrolled: 1-line block ×4, first 2 shown]
	s_waitcnt vmcnt(10)
	v_fma_f32 v36, v28, v28, v9
	v_mul_f32_e32 v37, 0x4f800000, v36
	v_cmp_gt_f32_e32 vcc, s3, v36
	s_nop 1
	v_cndmask_b32_e32 v36, v36, v37, vcc
	v_sqrt_f32_e32 v37, v36
	s_nop 0
	v_add_u32_e32 v41, -1, v37
	v_add_u32_e32 v42, 1, v37
	v_fma_f32 v43, -v41, v37, v36
	v_fma_f32 v44, -v42, v37, v36
	v_cmp_ge_f32_e64 s[2:3], 0, v43
	s_nop 1
	v_cndmask_b32_e64 v37, v37, v41, s[2:3]
	v_cmp_lt_f32_e64 s[2:3], 0, v44
	s_nop 1
	v_cndmask_b32_e64 v37, v37, v42, s[2:3]
	v_mul_f32_e32 v41, 0x37800000, v37
	v_cndmask_b32_e32 v37, v37, v41, vcc
	v_cmp_class_f32_e32 vcc, v36, v29
	s_nop 1
	v_cndmask_b32_e32 v29, v37, v36, vcc
	v_cmp_lt_f32_e32 vcc, 0, v28
	s_nop 1
	v_cndmask_b32_e64 v29, -v29, v29, vcc
	v_add_f32_e32 v29, v28, v29
	v_div_scale_f32 v36, s[2:3], v29, v29, v8
	v_div_scale_f32 v41, s[2:3], v29, v29, 0
	v_mul_f32_e32 v43, v29, v29
	v_fmac_f32_e32 v9, v29, v29
	v_rcp_f32_e32 v44, v36
	v_rcp_f32_e32 v45, v41
	v_add_f32_e32 v43, v43, v43
	v_div_scale_f32 v46, s[4:5], v9, v9, v43
	v_rcp_f32_e32 v48, v46
	v_fma_f32 v49, -v36, v44, 1.0
	v_fma_f32 v50, -v41, v45, 1.0
	v_div_scale_f32 v37, vcc, v8, v29, v8
	v_div_scale_f32 v42, s[2:3], 0, v29, 0
	v_fmac_f32_e32 v44, v49, v44
	v_fmac_f32_e32 v45, v50, v45
	v_mul_f32_e32 v49, v37, v44
	v_mul_f32_e32 v50, v42, v45
	v_fma_f32 v51, -v46, v48, 1.0
	v_div_scale_f32 v47, s[4:5], v43, v9, v43
	v_fma_f32 v52, -v36, v49, v37
	v_fma_f32 v53, -v41, v50, v42
	v_fmac_f32_e32 v48, v51, v48
	v_fmac_f32_e32 v49, v52, v44
	;; [unrolled: 1-line block ×3, first 2 shown]
	v_mul_f32_e32 v51, v47, v48
	v_fma_f32 v36, -v36, v49, v37
	v_fma_f32 v37, -v41, v50, v42
	;; [unrolled: 1-line block ×3, first 2 shown]
	v_div_fmas_f32 v36, v36, v44, v49
	v_fmac_f32_e32 v51, v41, v48
	s_mov_b64 vcc, s[2:3]
	v_div_fixup_f32 v36, v36, v29, v8
	v_div_fmas_f32 v37, v37, v45, v50
	v_fma_f32 v41, -v46, v51, v47
	s_mov_b64 vcc, s[4:5]
	v_div_fixup_f32 v29, v37, v29, 0
	v_div_fmas_f32 v37, v41, v48, v51
	s_waitcnt vmcnt(7)
	v_fma_f32 v41, v36, v30, v31
	v_div_fixup_f32 v9, v37, v9, v43
	v_fmac_f32_e32 v41, 0, v29
	v_fma_f32 v31, -v41, v9, v31
	global_store_dword v[20:21], v31, off
	global_load_dword v20, v[18:19], off
	v_fma_f32 v21, v36, v36, 1.0
	v_fma_f32 v8, v36, v8, v28
	s_waitcnt vmcnt(7)
	v_fma_f32 v31, v36, v1, v33
	v_fmac_f32_e32 v21, v29, v29
	global_store_dword v[2:3], v36, off
	v_fmac_f32_e32 v8, 0, v29
	v_fmac_f32_e32 v31, 0, v29
	v_div_scale_f32 v2, s[2:3], v21, v21, 2.0
	v_fma_f32 v8, -v8, v9, v28
	v_fma_f32 v28, -v31, v9, v33
	v_rcp_f32_e32 v33, v2
	s_waitcnt vmcnt(7)
	v_fma_f32 v37, v36, v32, v34
	s_waitcnt vmcnt(3)
	v_fma_f32 v40, v36, v40, v35
	v_fma_f32 v42, v36, v39, v38
	v_fmac_f32_e32 v37, 0, v29
	v_fmac_f32_e32 v40, 0, v29
	;; [unrolled: 1-line block ×3, first 2 shown]
	v_mul_f32_e32 v29, v31, v9
	v_mul_f32_e32 v43, v37, v9
	;; [unrolled: 1-line block ×3, first 2 shown]
	v_fma_f32 v1, -v29, v36, v1
	v_mul_f32_e32 v44, v40, v9
	v_fma_f32 v31, -v37, v9, v34
	v_fma_f32 v9, -v40, v9, v35
	global_store_dword v[10:11], v8, off
	global_store_dword v[22:23], v28, off
	;; [unrolled: 1-line block ×4, first 2 shown]
	v_fma_f32 v6, -v43, v36, v32
	v_fma_f32 v7, -v41, v36, v30
	global_store_dword v[14:15], v1, off
	global_store_dword v[16:17], v6, off
	;; [unrolled: 1-line block ×3, first 2 shown]
	v_fma_f32 v1, -v2, v33, 1.0
	v_div_scale_f32 v3, vcc, 2.0, v21, 2.0
	v_fmac_f32_e32 v33, v1, v33
	v_mul_f32_e32 v1, v3, v33
	v_fma_f32 v4, -v2, v1, v3
	v_fmac_f32_e32 v1, v4, v33
	v_fma_f32 v2, -v2, v1, v3
	v_div_fmas_f32 v1, v2, v33, v1
	v_div_fixup_f32 v1, v1, v21, 2.0
	v_mul_f32_e32 v2, v42, v1
	v_fma_f32 v1, -v42, v1, v38
	global_store_dword v[12:13], v1, off
	v_fma_f32 v1, -v36, v2, v39
	s_waitcnt vmcnt(9)
	v_fma_f32 v2, -v44, v36, v20
	global_store_dword v[18:19], v2, off
	global_store_dword v[26:27], v1, off
.LBB1_10:
	s_or_b64 exec, exec, s[6:7]
.LBB1_11:
	s_cmp_lt_i32 s12, 1
	s_cbranch_scc1 .LBB1_24
; %bb.12:
	s_mul_i32 s2, s14, s12
	v_add_u32_e32 v4, s2, v0
	s_add_i32 s2, s12, 3
	s_mul_i32 s2, s14, s2
	v_add_u32_e32 v5, s2, v0
	s_add_i32 s2, s12, 2
	s_mul_i32 s2, s14, s2
	s_load_dwordx2 s[0:1], s[0:1], 0x38
	v_add_u32_e32 v6, s2, v0
	s_add_i32 s2, s12, 1
	s_mul_i32 s2, s14, s2
	v_add_u32_e32 v7, s2, v0
	s_add_i32 s2, s12, -1
	s_mul_i32 s3, s14, s2
	s_mul_i32 s2, s13, s2
	v_add_u32_e32 v8, s3, v0
	v_add_u32_e32 v9, s2, v0
	s_mov_b32 s4, s12
	s_branch .LBB1_14
.LBB1_13:                               ;   in Loop: Header=BB1_14 Depth=1
	s_waitcnt lgkmcnt(0)
	v_lshl_add_u64 v[2:3], v[2:3], 2, s[10:11]
	v_lshlrev_b64 v[0:1], 2, v[0:1]
	global_load_dword v11, v[2:3], off
	v_lshl_add_u64 v[2:3], s[20:21], 0, v[0:1]
	global_load_dword v2, v[2:3], off
	s_add_i32 s5, s4, -1
	v_subrev_u32_e32 v4, s14, v4
	v_subrev_u32_e32 v5, s14, v5
	;; [unrolled: 1-line block ×6, first 2 shown]
	v_lshl_add_u64 v[0:1], s[0:1], 0, v[0:1]
	s_cmp_gt_u32 s4, 1
	s_mov_b32 s4, s5
	s_waitcnt vmcnt(1)
	v_sub_f32_e32 v3, v11, v10
	s_waitcnt vmcnt(0)
	v_div_scale_f32 v10, s[2:3], v2, v2, v3
	v_rcp_f32_e32 v11, v10
	v_div_scale_f32 v12, vcc, v3, v2, v3
	v_fma_f32 v13, -v10, v11, 1.0
	v_fmac_f32_e32 v11, v13, v11
	v_mul_f32_e32 v13, v12, v11
	v_fma_f32 v14, -v10, v13, v12
	v_fmac_f32_e32 v13, v14, v11
	v_fma_f32 v10, -v10, v13, v12
	v_div_fmas_f32 v10, v10, v11, v13
	v_div_fixup_f32 v2, v10, v2, v3
	global_store_dword v[0:1], v2, off
	s_cbranch_scc0 .LBB1_24
.LBB1_14:                               ; =>This Inner Loop Header: Depth=1
	v_add_u32_e32 v0, s15, v8
	s_cmp_ge_i32 s4, s12
	v_ashrrev_i32_e32 v1, 31, v0
	v_mov_b32_e32 v10, 0
	s_cbranch_scc1 .LBB1_16
; %bb.15:                               ;   in Loop: Header=BB1_14 Depth=1
	s_waitcnt lgkmcnt(0)
	v_lshl_add_u64 v[2:3], v[0:1], 2, s[22:23]
	global_load_dword v10, v[2:3], off
	v_add_u32_e32 v2, s15, v4
	v_ashrrev_i32_e32 v3, 31, v2
	v_lshl_add_u64 v[2:3], v[2:3], 2, s[0:1]
	global_load_dword v2, v[2:3], off
	s_waitcnt vmcnt(0)
	v_fma_f32 v10, v10, v2, 0
.LBB1_16:                               ;   in Loop: Header=BB1_14 Depth=1
	s_add_i32 s5, s4, 1
	s_cmp_ge_i32 s5, s12
	s_cbranch_scc1 .LBB1_18
; %bb.17:                               ;   in Loop: Header=BB1_14 Depth=1
	s_waitcnt lgkmcnt(0)
	v_lshl_add_u64 v[2:3], v[0:1], 2, s[24:25]
	global_load_dword v11, v[2:3], off
	v_add_u32_e32 v2, s15, v7
	v_ashrrev_i32_e32 v3, 31, v2
	v_lshl_add_u64 v[2:3], v[2:3], 2, s[0:1]
	global_load_dword v2, v[2:3], off
	s_waitcnt vmcnt(0)
	v_fmac_f32_e32 v10, v11, v2
.LBB1_18:                               ;   in Loop: Header=BB1_14 Depth=1
	s_add_i32 s5, s5, 1
	v_add_u32_e32 v2, s15, v9
	s_cmp_lt_i32 s5, s12
	s_mov_b64 s[2:3], -1
	s_cbranch_scc0 .LBB1_21
; %bb.19:                               ;   in Loop: Header=BB1_14 Depth=1
	s_andn2_b64 vcc, exec, s[2:3]
	s_cbranch_vccz .LBB1_22
.LBB1_20:                               ;   in Loop: Header=BB1_14 Depth=1
	s_add_i32 s5, s5, 1
	s_cmp_ge_i32 s5, s12
	s_cbranch_scc1 .LBB1_13
	s_branch .LBB1_23
.LBB1_21:                               ;   in Loop: Header=BB1_14 Depth=1
	v_ashrrev_i32_e32 v3, 31, v2
	s_cbranch_execnz .LBB1_20
.LBB1_22:                               ;   in Loop: Header=BB1_14 Depth=1
	v_ashrrev_i32_e32 v3, 31, v2
	s_waitcnt lgkmcnt(0)
	v_lshl_add_u64 v[12:13], v[2:3], 2, s[16:17]
	global_load_dword v11, v[12:13], off
	v_add_u32_e32 v12, s15, v6
	v_ashrrev_i32_e32 v13, 31, v12
	v_lshl_add_u64 v[12:13], v[12:13], 2, s[0:1]
	global_load_dword v12, v[12:13], off
	s_waitcnt vmcnt(0)
	v_fmac_f32_e32 v10, v11, v12
	s_add_i32 s5, s5, 1
	s_cmp_ge_i32 s5, s12
	s_cbranch_scc1 .LBB1_13
.LBB1_23:                               ;   in Loop: Header=BB1_14 Depth=1
	s_waitcnt lgkmcnt(0)
	v_lshl_add_u64 v[12:13], v[2:3], 2, s[18:19]
	global_load_dword v11, v[12:13], off
	v_add_u32_e32 v12, s15, v5
	v_ashrrev_i32_e32 v13, 31, v12
	v_lshl_add_u64 v[12:13], v[12:13], 2, s[0:1]
	global_load_dword v12, v[12:13], off
	s_waitcnt vmcnt(0)
	v_fmac_f32_e32 v10, v11, v12
	s_branch .LBB1_13
.LBB1_24:
	s_endpgm
	.section	.rodata,"a",@progbits
	.p2align	6, 0x0
	.amdhsa_kernel _ZN9rocsparseL44gpsv_interleaved_batch_householder_qr_kernelILj256EfEEviiiPT0_S2_S2_S2_S2_S2_S2_S2_S2_
		.amdhsa_group_segment_fixed_size 0
		.amdhsa_private_segment_fixed_size 0
		.amdhsa_kernarg_size 344
		.amdhsa_user_sgpr_count 2
		.amdhsa_user_sgpr_dispatch_ptr 0
		.amdhsa_user_sgpr_queue_ptr 0
		.amdhsa_user_sgpr_kernarg_segment_ptr 1
		.amdhsa_user_sgpr_dispatch_id 0
		.amdhsa_user_sgpr_kernarg_preload_length 0
		.amdhsa_user_sgpr_kernarg_preload_offset 0
		.amdhsa_user_sgpr_private_segment_size 0
		.amdhsa_uses_dynamic_stack 0
		.amdhsa_enable_private_segment 0
		.amdhsa_system_sgpr_workgroup_id_x 1
		.amdhsa_system_sgpr_workgroup_id_y 0
		.amdhsa_system_sgpr_workgroup_id_z 0
		.amdhsa_system_sgpr_workgroup_info 0
		.amdhsa_system_vgpr_workitem_id 0
		.amdhsa_next_free_vgpr 59
		.amdhsa_next_free_sgpr 36
		.amdhsa_accum_offset 60
		.amdhsa_reserve_vcc 1
		.amdhsa_float_round_mode_32 0
		.amdhsa_float_round_mode_16_64 0
		.amdhsa_float_denorm_mode_32 3
		.amdhsa_float_denorm_mode_16_64 3
		.amdhsa_dx10_clamp 1
		.amdhsa_ieee_mode 1
		.amdhsa_fp16_overflow 0
		.amdhsa_tg_split 0
		.amdhsa_exception_fp_ieee_invalid_op 0
		.amdhsa_exception_fp_denorm_src 0
		.amdhsa_exception_fp_ieee_div_zero 0
		.amdhsa_exception_fp_ieee_overflow 0
		.amdhsa_exception_fp_ieee_underflow 0
		.amdhsa_exception_fp_ieee_inexact 0
		.amdhsa_exception_int_div_zero 0
	.end_amdhsa_kernel
	.section	.text._ZN9rocsparseL44gpsv_interleaved_batch_householder_qr_kernelILj256EfEEviiiPT0_S2_S2_S2_S2_S2_S2_S2_S2_,"axG",@progbits,_ZN9rocsparseL44gpsv_interleaved_batch_householder_qr_kernelILj256EfEEviiiPT0_S2_S2_S2_S2_S2_S2_S2_S2_,comdat
.Lfunc_end1:
	.size	_ZN9rocsparseL44gpsv_interleaved_batch_householder_qr_kernelILj256EfEEviiiPT0_S2_S2_S2_S2_S2_S2_S2_S2_, .Lfunc_end1-_ZN9rocsparseL44gpsv_interleaved_batch_householder_qr_kernelILj256EfEEviiiPT0_S2_S2_S2_S2_S2_S2_S2_S2_
                                        ; -- End function
	.set _ZN9rocsparseL44gpsv_interleaved_batch_householder_qr_kernelILj256EfEEviiiPT0_S2_S2_S2_S2_S2_S2_S2_S2_.num_vgpr, 59
	.set _ZN9rocsparseL44gpsv_interleaved_batch_householder_qr_kernelILj256EfEEviiiPT0_S2_S2_S2_S2_S2_S2_S2_S2_.num_agpr, 0
	.set _ZN9rocsparseL44gpsv_interleaved_batch_householder_qr_kernelILj256EfEEviiiPT0_S2_S2_S2_S2_S2_S2_S2_S2_.numbered_sgpr, 36
	.set _ZN9rocsparseL44gpsv_interleaved_batch_householder_qr_kernelILj256EfEEviiiPT0_S2_S2_S2_S2_S2_S2_S2_S2_.num_named_barrier, 0
	.set _ZN9rocsparseL44gpsv_interleaved_batch_householder_qr_kernelILj256EfEEviiiPT0_S2_S2_S2_S2_S2_S2_S2_S2_.private_seg_size, 0
	.set _ZN9rocsparseL44gpsv_interleaved_batch_householder_qr_kernelILj256EfEEviiiPT0_S2_S2_S2_S2_S2_S2_S2_S2_.uses_vcc, 1
	.set _ZN9rocsparseL44gpsv_interleaved_batch_householder_qr_kernelILj256EfEEviiiPT0_S2_S2_S2_S2_S2_S2_S2_S2_.uses_flat_scratch, 0
	.set _ZN9rocsparseL44gpsv_interleaved_batch_householder_qr_kernelILj256EfEEviiiPT0_S2_S2_S2_S2_S2_S2_S2_S2_.has_dyn_sized_stack, 0
	.set _ZN9rocsparseL44gpsv_interleaved_batch_householder_qr_kernelILj256EfEEviiiPT0_S2_S2_S2_S2_S2_S2_S2_S2_.has_recursion, 0
	.set _ZN9rocsparseL44gpsv_interleaved_batch_householder_qr_kernelILj256EfEEviiiPT0_S2_S2_S2_S2_S2_S2_S2_S2_.has_indirect_call, 0
	.section	.AMDGPU.csdata,"",@progbits
; Kernel info:
; codeLenInByte = 3180
; TotalNumSgprs: 42
; NumVgprs: 59
; NumAgprs: 0
; TotalNumVgprs: 59
; ScratchSize: 0
; MemoryBound: 0
; FloatMode: 240
; IeeeMode: 1
; LDSByteSize: 0 bytes/workgroup (compile time only)
; SGPRBlocks: 5
; VGPRBlocks: 7
; NumSGPRsForWavesPerEU: 42
; NumVGPRsForWavesPerEU: 59
; AccumOffset: 60
; Occupancy: 8
; WaveLimiterHint : 0
; COMPUTE_PGM_RSRC2:SCRATCH_EN: 0
; COMPUTE_PGM_RSRC2:USER_SGPR: 2
; COMPUTE_PGM_RSRC2:TRAP_HANDLER: 0
; COMPUTE_PGM_RSRC2:TGID_X_EN: 1
; COMPUTE_PGM_RSRC2:TGID_Y_EN: 0
; COMPUTE_PGM_RSRC2:TGID_Z_EN: 0
; COMPUTE_PGM_RSRC2:TIDIG_COMP_CNT: 0
; COMPUTE_PGM_RSRC3_GFX90A:ACCUM_OFFSET: 14
; COMPUTE_PGM_RSRC3_GFX90A:TG_SPLIT: 0
	.section	.text._ZN9rocsparseL39gpsv_interleaved_batch_givens_qr_kernelILj128EfEEviiiPT0_S2_S2_S2_S2_S2_S2_S2_,"axG",@progbits,_ZN9rocsparseL39gpsv_interleaved_batch_givens_qr_kernelILj128EfEEviiiPT0_S2_S2_S2_S2_S2_S2_S2_,comdat
	.globl	_ZN9rocsparseL39gpsv_interleaved_batch_givens_qr_kernelILj128EfEEviiiPT0_S2_S2_S2_S2_S2_S2_S2_ ; -- Begin function _ZN9rocsparseL39gpsv_interleaved_batch_givens_qr_kernelILj128EfEEviiiPT0_S2_S2_S2_S2_S2_S2_S2_
	.p2align	8
	.type	_ZN9rocsparseL39gpsv_interleaved_batch_givens_qr_kernelILj128EfEEviiiPT0_S2_S2_S2_S2_S2_S2_S2_,@function
_ZN9rocsparseL39gpsv_interleaved_batch_givens_qr_kernelILj128EfEEviiiPT0_S2_S2_S2_S2_S2_S2_S2_: ; @_ZN9rocsparseL39gpsv_interleaved_batch_givens_qr_kernelILj128EfEEviiiPT0_S2_S2_S2_S2_S2_S2_S2_
; %bb.0:
	s_load_dwordx4 s[12:15], s[0:1], 0x0
	s_waitcnt lgkmcnt(0)
	s_lshl_b32 s15, s2, 7
	v_or_b32_e32 v1, s15, v0
	v_cmp_gt_i32_e32 vcc, s13, v1
	s_and_saveexec_b64 s[2:3], vcc
	s_cbranch_execz .LBB2_7
; %bb.1:
	s_load_dwordx2 s[2:3], s[0:1], 0x48
	s_load_dwordx4 s[16:19], s[0:1], 0x38
	s_load_dwordx8 s[4:11], s[0:1], 0x18
	s_add_i32 s22, s12, -2
	s_cmp_lt_i32 s12, 3
	s_cbranch_scc1 .LBB2_4
; %bb.2:
	s_load_dwordx2 s[20:21], s[0:1], 0x10
	s_lshl_b32 s23, s14, 1
	s_mov_b32 s24, 0xf800000
	v_mov_b32_e32 v6, 0x260
	v_mov_b32_e32 v2, v1
	s_mov_b32 s25, s22
	v_mov_b32_e32 v4, v1
.LBB2_3:                                ; =>This Inner Loop Header: Depth=1
	v_add_u32_e32 v10, s23, v2
	v_add_u32_e32 v8, s14, v2
	v_ashrrev_i32_e32 v11, 31, v10
	v_ashrrev_i32_e32 v3, 31, v2
	;; [unrolled: 1-line block ×3, first 2 shown]
	v_lshlrev_b64 v[10:11], 2, v[10:11]
	v_ashrrev_i32_e32 v5, 31, v4
	v_lshlrev_b64 v[14:15], 2, v[2:3]
	v_mov_b32_e32 v2, v8
	v_lshlrev_b64 v[8:9], 2, v[8:9]
	s_waitcnt lgkmcnt(0)
	v_lshl_add_u64 v[26:27], s[20:21], 0, v[10:11]
	v_lshlrev_b64 v[16:17], 2, v[4:5]
	v_lshl_add_u64 v[28:29], s[4:5], 0, v[8:9]
	v_lshl_add_u64 v[30:31], s[4:5], 0, v[10:11]
	;; [unrolled: 1-line block ×10, first 2 shown]
	global_load_dword v3, v[26:27], off
	global_load_dword v5, v[28:29], off
	;; [unrolled: 1-line block ×11, first 2 shown]
	v_add_u32_e32 v12, s13, v4
	v_ashrrev_i32_e32 v13, 31, v12
	v_mov_b32_e32 v4, v12
	v_lshl_add_u64 v[12:13], v[12:13], 2, s[16:17]
	v_lshl_add_u64 v[18:19], s[6:7], 0, v[14:15]
	;; [unrolled: 1-line block ×6, first 2 shown]
	s_add_i32 s25, s25, -1
	s_cmp_eq_u32 s25, 0
	v_lshl_add_u64 v[16:17], s[18:19], 0, v[16:17]
	s_waitcnt vmcnt(10)
	v_mul_f32_e32 v26, v3, v3
	s_waitcnt vmcnt(9)
	v_fmac_f32_e32 v26, v5, v5
	v_mul_f32_e32 v27, 0x4f800000, v26
	v_cmp_gt_f32_e32 vcc, s24, v26
	s_nop 1
	v_cndmask_b32_e32 v26, v26, v27, vcc
	v_sqrt_f32_e32 v27, v26
	s_nop 0
	v_add_u32_e32 v52, -1, v27
	v_add_u32_e32 v53, 1, v27
	v_fma_f32 v54, -v52, v27, v26
	v_fma_f32 v55, -v53, v27, v26
	v_cmp_ge_f32_e64 s[0:1], 0, v54
	s_nop 1
	v_cndmask_b32_e64 v27, v27, v52, s[0:1]
	v_cmp_lt_f32_e64 s[0:1], 0, v55
	s_nop 1
	v_cndmask_b32_e64 v27, v27, v53, s[0:1]
	v_mul_f32_e32 v52, 0x37800000, v27
	v_cndmask_b32_e32 v27, v27, v52, vcc
	v_cmp_class_f32_e32 vcc, v26, v6
	s_nop 1
	v_cndmask_b32_e32 v26, v27, v26, vcc
	v_div_scale_f32 v27, s[0:1], v26, v26, v5
	v_div_scale_f32 v53, s[0:1], v26, v26, v3
	v_rcp_f32_e32 v55, v27
	v_rcp_f32_e32 v56, v53
	v_div_scale_f32 v52, vcc, v5, v26, v5
	v_fma_f32 v57, -v27, v55, 1.0
	v_fma_f32 v58, -v53, v56, 1.0
	v_fmac_f32_e32 v55, v57, v55
	v_div_scale_f32 v54, s[0:1], v3, v26, v3
	v_fmac_f32_e32 v56, v58, v56
	v_mul_f32_e32 v57, v52, v55
	v_mul_f32_e32 v58, v54, v56
	v_fma_f32 v59, -v27, v57, v52
	v_fmac_f32_e32 v57, v59, v55
	v_fma_f32 v59, -v53, v58, v54
	v_fmac_f32_e32 v58, v59, v56
	v_fma_f32 v27, -v27, v57, v52
	v_fma_f32 v52, -v53, v58, v54
	v_div_fmas_f32 v27, v27, v55, v57
	s_mov_b64 vcc, s[0:1]
	v_div_fmas_f32 v52, v52, v56, v58
	v_div_fixup_f32 v27, v27, v26, v5
	v_div_fixup_f32 v26, v52, v26, v3
	v_mul_f32_e32 v3, v3, v26
	s_waitcnt vmcnt(8)
	v_mul_f32_e32 v52, v7, v27
	s_waitcnt vmcnt(7)
	;; [unrolled: 2-line block ×5, first 2 shown]
	v_mul_f32_e32 v56, v27, v47
	v_mul_f32_e32 v7, v7, v26
	;; [unrolled: 1-line block ×6, first 2 shown]
	v_fmac_f32_e32 v3, v5, v27
	s_waitcnt vmcnt(3)
	v_fma_f32 v52, -v48, v26, v52
	s_waitcnt vmcnt(2)
	v_fma_f32 v53, -v49, v26, v53
	;; [unrolled: 2-line block ×3, first 2 shown]
	v_fmac_f32_e32 v7, v48, v27
	v_fmac_f32_e32 v44, v49, v27
	v_fmac_f32_e32 v45, v50, v27
	global_store_dword v[12:13], v46, off
	s_waitcnt vmcnt(1)
	v_fmac_f32_e32 v47, v51, v27
	global_store_dword v[28:29], v3, off
	global_store_dword v[30:31], v52, off
	;; [unrolled: 1-line block ×9, first 2 shown]
	global_load_dword v5, v[18:19], off
	v_fma_f32 v26, -v51, v26, v56
	global_store_dword v[10:11], v26, off
	global_load_dword v10, v[24:25], off
	s_nop 0
	global_load_dword v26, v[8:9], off
	global_load_dword v27, v[20:21], off
	;; [unrolled: 1-line block ×4, first 2 shown]
	v_mul_f32_e32 v11, v3, v3
	s_waitcnt vmcnt(6)
	v_fmac_f32_e32 v11, v5, v5
	v_mul_f32_e32 v30, 0x4f800000, v11
	v_cmp_gt_f32_e32 vcc, s24, v11
	s_nop 1
	v_cndmask_b32_e32 v11, v11, v30, vcc
	v_sqrt_f32_e32 v30, v11
	s_nop 0
	v_add_u32_e32 v31, -1, v30
	v_add_u32_e32 v34, 1, v30
	v_fma_f32 v35, -v31, v30, v11
	v_fma_f32 v38, -v34, v30, v11
	v_cmp_ge_f32_e64 s[0:1], 0, v35
	s_nop 1
	v_cndmask_b32_e64 v30, v30, v31, s[0:1]
	v_cmp_lt_f32_e64 s[0:1], 0, v38
	s_nop 1
	v_cndmask_b32_e64 v30, v30, v34, s[0:1]
	v_mul_f32_e32 v31, 0x37800000, v30
	v_cndmask_b32_e32 v30, v30, v31, vcc
	v_cmp_class_f32_e32 vcc, v11, v6
	s_nop 1
	v_cndmask_b32_e32 v11, v30, v11, vcc
	v_div_scale_f32 v30, s[0:1], v11, v11, v5
	v_div_scale_f32 v34, s[0:1], v11, v11, v3
	v_rcp_f32_e32 v38, v30
	v_rcp_f32_e32 v39, v34
	v_div_scale_f32 v31, vcc, v5, v11, v5
	v_fma_f32 v42, -v30, v38, 1.0
	v_fma_f32 v43, -v34, v39, 1.0
	v_fmac_f32_e32 v38, v42, v38
	v_div_scale_f32 v35, s[0:1], v3, v11, v3
	v_fmac_f32_e32 v39, v43, v39
	v_mul_f32_e32 v42, v31, v38
	v_mul_f32_e32 v43, v35, v39
	v_fma_f32 v47, -v30, v42, v31
	v_fma_f32 v48, -v34, v43, v35
	v_fmac_f32_e32 v42, v47, v38
	v_fmac_f32_e32 v43, v48, v39
	v_fma_f32 v30, -v30, v42, v31
	v_fma_f32 v31, -v34, v43, v35
	v_div_fmas_f32 v30, v30, v38, v42
	s_mov_b64 vcc, s[0:1]
	v_div_fmas_f32 v31, v31, v39, v43
	v_div_fixup_f32 v30, v30, v11, v5
	v_div_fixup_f32 v11, v31, v11, v3
	v_mul_f32_e32 v3, v3, v11
	v_mul_f32_e32 v31, v7, v30
	;; [unrolled: 1-line block ×4, first 2 shown]
	s_waitcnt vmcnt(3)
	v_mul_f32_e32 v39, v30, v26
	v_mul_f32_e32 v7, v7, v11
	;; [unrolled: 1-line block ×6, first 2 shown]
	v_fmac_f32_e32 v3, v5, v30
	v_mul_f32_e32 v38, v46, v30
	s_waitcnt vmcnt(2)
	v_fma_f32 v31, -v27, v11, v31
	s_waitcnt vmcnt(1)
	v_fma_f32 v34, -v28, v11, v34
	v_fma_f32 v35, -v10, v11, v35
	s_waitcnt vmcnt(0)
	v_fma_f32 v11, -v29, v11, v39
	v_fmac_f32_e32 v7, v27, v30
	v_fmac_f32_e32 v42, v28, v30
	;; [unrolled: 1-line block ×3, first 2 shown]
	global_store_dword v[16:17], v44, off
	v_fmac_f32_e32 v26, v29, v30
	global_store_dword v[18:19], v3, off
	global_store_dword v[32:33], v31, off
	;; [unrolled: 1-line block ×10, first 2 shown]
	s_cbranch_scc0 .LBB2_3
.LBB2_4:
	s_add_i32 s0, s12, -1
	s_mul_i32 s20, s14, s0
	v_add_u32_e32 v2, s20, v1
	v_ashrrev_i32_e32 v3, 31, v2
	v_lshlrev_b64 v[2:3], 2, v[2:3]
	s_waitcnt lgkmcnt(0)
	v_lshl_add_u64 v[4:5], s[4:5], 0, v[2:3]
	s_sub_i32 s4, s20, s14
	global_load_dword v24, v[4:5], off
	v_add_u32_e32 v4, s4, v1
	v_ashrrev_i32_e32 v5, 31, v4
	v_lshlrev_b64 v[4:5], 2, v[4:5]
	v_lshl_add_u64 v[6:7], s[6:7], 0, v[4:5]
	global_load_dword v25, v[6:7], off
	v_lshl_add_u64 v[8:9], s[6:7], 0, v[2:3]
	v_lshl_add_u64 v[10:11], s[8:9], 0, v[2:3]
	;; [unrolled: 1-line block ×3, first 2 shown]
	global_load_dword v26, v[8:9], off
	global_load_dword v27, v[10:11], off
	;; [unrolled: 1-line block ×3, first 2 shown]
	v_lshl_add_u64 v[14:15], s[8:9], 0, v[4:5]
	v_lshl_add_u64 v[16:17], s[10:11], 0, v[4:5]
	;; [unrolled: 1-line block ×3, first 2 shown]
	global_load_dword v29, v[14:15], off
	global_load_dword v31, v[4:5], off
	global_load_dword v30, v[16:17], off
	s_mul_i32 s0, s13, s22
	v_add_u32_e32 v18, s0, v1
	v_ashrrev_i32_e32 v19, 31, v18
	v_lshlrev_b64 v[20:21], 2, v[18:19]
	s_mov_b32 s1, 0xf800000
	v_mov_b32_e32 v32, 0x260
	v_lshl_add_u64 v[22:23], s[16:17], 0, v[20:21]
	v_lshl_add_u64 v[2:3], s[10:11], 0, v[2:3]
	global_load_dword v34, v[22:23], off
	global_load_dword v35, v[2:3], off
	s_sub_i32 s4, s4, s14
	s_waitcnt vmcnt(9)
	v_mul_f32_e32 v19, v24, v24
	s_waitcnt vmcnt(8)
	v_fmac_f32_e32 v19, v25, v25
	v_mul_f32_e32 v33, 0x4f800000, v19
	v_cmp_gt_f32_e32 vcc, s1, v19
	s_nop 1
	v_cndmask_b32_e32 v19, v19, v33, vcc
	v_sqrt_f32_e32 v33, v19
	s_nop 0
	v_add_u32_e32 v36, -1, v33
	v_add_u32_e32 v37, 1, v33
	v_fma_f32 v38, -v36, v33, v19
	v_fma_f32 v39, -v37, v33, v19
	v_cmp_ge_f32_e64 s[0:1], 0, v38
	s_nop 1
	v_cndmask_b32_e64 v33, v33, v36, s[0:1]
	v_cmp_lt_f32_e64 s[0:1], 0, v39
	s_nop 1
	v_cndmask_b32_e64 v33, v33, v37, s[0:1]
	v_mul_f32_e32 v36, 0x37800000, v33
	v_cndmask_b32_e32 v33, v33, v36, vcc
	v_cmp_class_f32_e32 vcc, v19, v32
	s_nop 1
	v_cndmask_b32_e32 v19, v33, v19, vcc
	v_div_scale_f32 v32, s[0:1], v19, v19, v25
	v_div_scale_f32 v36, s[0:1], v19, v19, v24
	v_rcp_f32_e32 v37, v32
	v_rcp_f32_e32 v38, v36
	v_div_scale_f32 v33, vcc, v25, v19, v25
	v_fma_f32 v40, -v32, v37, 1.0
	v_fma_f32 v41, -v36, v38, 1.0
	v_fmac_f32_e32 v37, v40, v37
	v_div_scale_f32 v39, s[0:1], v24, v19, v24
	v_fmac_f32_e32 v38, v41, v38
	v_mul_f32_e32 v40, v33, v37
	v_mul_f32_e32 v41, v39, v38
	v_fma_f32 v42, -v32, v40, v33
	v_fma_f32 v43, -v36, v41, v39
	v_fmac_f32_e32 v40, v42, v37
	v_fmac_f32_e32 v41, v43, v38
	v_fma_f32 v32, -v32, v40, v33
	v_fma_f32 v33, -v36, v41, v39
	v_div_fmas_f32 v32, v32, v37, v40
	s_mov_b64 vcc, s[0:1]
	v_div_fixup_f32 v32, v32, v19, v25
	v_div_fmas_f32 v33, v33, v38, v41
	v_div_fixup_f32 v33, v33, v19, v24
	s_waitcnt vmcnt(7)
	v_mul_f32_e32 v19, v26, v32
	s_waitcnt vmcnt(5)
	v_mul_f32_e32 v37, v32, v28
	v_mul_f32_e32 v24, v24, v33
	s_waitcnt vmcnt(4)
	v_fma_f32 v19, -v29, v33, v19
	s_waitcnt vmcnt(3)
	v_fma_f32 v37, -v31, v33, v37
	v_mul_f32_e32 v26, v26, v33
	v_fmac_f32_e32 v24, v25, v32
	v_div_scale_f32 v25, s[0:1], v19, v19, v37
	v_fmac_f32_e32 v26, v29, v32
	global_store_dword v[6:7], v24, off
	global_store_dword v[14:15], v26, off
	v_rcp_f32_e32 v24, v25
	v_mul_f32_e32 v36, v27, v32
	s_waitcnt vmcnt(4)
	v_fma_f32 v36, -v30, v33, v36
	v_mul_f32_e32 v28, v33, v28
	v_fmac_f32_e32 v28, v31, v32
	global_store_dword v[10:11], v36, off
	global_store_dword v[4:5], v28, off
	v_fma_f32 v10, -v25, v24, 1.0
	v_div_scale_f32 v29, vcc, v37, v19, v37
	v_fmac_f32_e32 v24, v10, v24
	v_mul_f32_e32 v10, v29, v24
	v_fma_f32 v11, -v25, v10, v29
	v_fmac_f32_e32 v10, v11, v24
	v_fma_f32 v11, -v25, v10, v29
	v_div_fmas_f32 v10, v11, v24, v10
	v_div_fixup_f32 v28, v10, v19, v37
	global_store_dword v[12:13], v28, off
	global_load_dword v26, v[14:15], off
	global_load_dword v29, v[4:5], off
	v_mul_f32_e32 v27, v27, v33
	global_store_dword v[8:9], v19, off
	global_load_dword v31, v[6:7], off
	v_add_u32_e32 v6, s13, v18
	v_ashrrev_i32_e32 v7, 31, v6
	v_lshl_add_u64 v[8:9], v[6:7], 2, s[16:17]
	s_waitcnt vmcnt(9)
	v_mul_f32_e32 v7, v32, v35
	v_fmac_f32_e32 v27, v30, v32
	global_load_dword v36, v[8:9], off
	v_fma_f32 v7, -v34, v33, v7
	global_store_dword v[16:17], v27, off
	global_store_dword v[2:3], v7, off
	v_add_u32_e32 v10, s4, v1
	v_ashrrev_i32_e32 v11, 31, v10
	v_lshlrev_b64 v[10:11], 2, v[10:11]
	v_lshl_add_u64 v[18:19], s[8:9], 0, v[10:11]
	global_load_dword v27, v[18:19], off
	v_lshl_add_u64 v[24:25], s[10:11], 0, v[10:11]
	global_load_dword v24, v[24:25], off
	v_lshl_add_u64 v[14:15], s[2:3], 0, v[10:11]
	s_sub_i32 s4, s4, s14
	v_mul_f32_e32 v30, v33, v35
	v_fmac_f32_e32 v30, v34, v32
	s_cmp_lt_i32 s12, 5
	s_waitcnt vmcnt(7)
	v_fma_f32 v2, -v28, v26, v29
	s_waitcnt vmcnt(5)
	v_div_scale_f32 v3, s[0:1], v31, v31, v2
	v_rcp_f32_e32 v7, v3
	v_div_scale_f32 v16, vcc, v2, v31, v2
	v_fma_f32 v17, -v3, v7, 1.0
	v_fmac_f32_e32 v7, v17, v7
	v_mul_f32_e32 v17, v16, v7
	v_fma_f32 v18, -v3, v17, v16
	v_fmac_f32_e32 v17, v18, v7
	v_fma_f32 v3, -v3, v17, v16
	v_div_fmas_f32 v3, v3, v7, v17
	v_div_fixup_f32 v25, v3, v31, v2
	global_store_dword v[4:5], v25, off
	global_load_dword v26, v[14:15], off
	global_load_dword v28, v[12:13], off
	v_lshl_add_u64 v[2:3], s[6:7], 0, v[10:11]
	global_load_dword v29, v[2:3], off
	v_mad_u64_u32 v[2:3], s[0:1], s13, -3, v[6:7]
	v_add_u32_e32 v6, s4, v1
	v_ashrrev_i32_e32 v7, 31, v6
	v_lshlrev_b64 v[6:7], 2, v[6:7]
	s_waitcnt vmcnt(8)
	v_mul_f32_e32 v1, v32, v36
	global_store_dword v[22:23], v30, off
	global_store_dword v[8:9], v1, off
	v_lshl_add_u64 v[16:17], s[8:9], 0, v[6:7]
	v_lshl_add_u64 v[18:19], s[10:11], 0, v[6:7]
	global_load_dword v1, v[16:17], off
	global_load_dword v8, v[18:19], off
	v_ashrrev_i32_e32 v3, 31, v2
	v_lshl_add_u64 v[2:3], v[2:3], 2, s[16:17]
	global_load_dword v18, v[2:3], off
	v_lshl_add_u64 v[10:11], s[2:3], 0, v[6:7]
	s_waitcnt vmcnt(7)
	v_fma_f32 v9, -v25, v27, v26
	s_waitcnt vmcnt(6)
	v_fma_f32 v9, -v24, v28, v9
	s_waitcnt vmcnt(5)
	v_div_scale_f32 v16, s[0:1], v29, v29, v9
	v_rcp_f32_e32 v17, v16
	v_div_scale_f32 v2, vcc, v9, v29, v9
	v_fma_f32 v3, -v16, v17, 1.0
	v_fmac_f32_e32 v17, v3, v17
	v_mul_f32_e32 v3, v2, v17
	v_fma_f32 v19, -v16, v3, v2
	v_fmac_f32_e32 v3, v19, v17
	v_fma_f32 v2, -v16, v3, v2
	v_div_fmas_f32 v2, v2, v17, v3
	v_div_fixup_f32 v9, v2, v29, v9
	global_store_dword v[14:15], v9, off
	global_load_dword v14, v[10:11], off
	s_nop 0
	global_load_dword v15, v[4:5], off
	global_load_dword v16, v[12:13], off
	v_lshl_add_u64 v[2:3], s[6:7], 0, v[6:7]
	global_load_dword v4, v[2:3], off
	v_lshl_add_u64 v[2:3], s[18:19], 0, v[20:21]
	v_mul_f32_e32 v5, v33, v36
	global_store_dword v[2:3], v5, off
	s_waitcnt vmcnt(4)
	v_fma_f32 v1, -v9, v1, v14
	s_waitcnt vmcnt(3)
	v_fma_f32 v1, -v8, v15, v1
	;; [unrolled: 2-line block ×3, first 2 shown]
	s_waitcnt vmcnt(1)
	v_div_scale_f32 v6, s[0:1], v4, v4, v1
	v_rcp_f32_e32 v7, v6
	v_div_scale_f32 v2, vcc, v1, v4, v1
	v_fma_f32 v3, -v6, v7, 1.0
	v_fmac_f32_e32 v7, v3, v7
	v_mul_f32_e32 v3, v2, v7
	v_fma_f32 v5, -v6, v3, v2
	v_fmac_f32_e32 v3, v5, v7
	v_fma_f32 v2, -v6, v3, v2
	v_div_fmas_f32 v2, v2, v7, v3
	v_div_fixup_f32 v1, v2, v4, v1
	global_store_dword v[10:11], v1, off
	s_cbranch_scc1 .LBB2_7
; %bb.5:
	s_add_i32 s1, s12, -5
	s_add_i32 s0, s12, -4
	s_mul_i32 s4, s13, s1
	v_add_u32_e32 v1, s4, v0
	s_mul_i32 s4, s14, s0
	v_add_u32_e32 v2, s4, v0
	s_add_i32 s4, s12, -3
	s_mul_i32 s4, s14, s4
	v_add_u32_e32 v3, s4, v0
	s_mul_i32 s4, s14, s22
	s_mul_i32 s1, s14, s1
	v_add_u32_e32 v4, s4, v0
	v_add_u32_e32 v5, s20, v0
	;; [unrolled: 1-line block ×3, first 2 shown]
.LBB2_6:                                ; =>This Inner Loop Header: Depth=1
	v_add_u32_e32 v8, s15, v2
	v_add_u32_e32 v10, s15, v3
	;; [unrolled: 1-line block ×3, first 2 shown]
	v_ashrrev_i32_e32 v9, 31, v8
	v_ashrrev_i32_e32 v11, 31, v10
	;; [unrolled: 1-line block ×3, first 2 shown]
	v_add_u32_e32 v6, s15, v0
	v_add_u32_e32 v12, s15, v1
	;; [unrolled: 1-line block ×3, first 2 shown]
	v_lshl_add_u64 v[8:9], v[8:9], 2, s[2:3]
	v_lshl_add_u64 v[10:11], v[10:11], 2, s[2:3]
	;; [unrolled: 1-line block ×3, first 2 shown]
	v_ashrrev_i32_e32 v7, 31, v6
	v_ashrrev_i32_e32 v13, 31, v12
	;; [unrolled: 1-line block ×3, first 2 shown]
	global_load_dword v8, v[8:9], off
	v_lshlrev_b64 v[6:7], 2, v[6:7]
	global_load_dword v14, v[14:15], off
	v_lshlrev_b64 v[12:13], 2, v[12:13]
	global_load_dword v9, v[10:11], off
	v_lshl_add_u64 v[16:17], v[16:17], 2, s[2:3]
	v_lshl_add_u64 v[18:19], s[2:3], 0, v[6:7]
	;; [unrolled: 1-line block ×6, first 2 shown]
	global_load_dword v15, v[16:17], off
	global_load_dword v28, v[18:19], off
	;; [unrolled: 1-line block ×6, first 2 shown]
	v_lshl_add_u64 v[6:7], s[6:7], 0, v[6:7]
	global_load_dword v10, v[6:7], off
	s_add_i32 s0, s0, -1
	v_subrev_u32_e32 v1, s13, v1
	v_subrev_u32_e32 v2, s14, v2
	;; [unrolled: 1-line block ×6, first 2 shown]
	s_cmp_lg_u32 s0, 0
	s_waitcnt vmcnt(3)
	v_pk_mul_f32 v[6:7], v[24:25], v[8:9]
	s_nop 0
	v_sub_f32_e32 v6, v28, v6
	s_waitcnt vmcnt(1)
	v_pk_mul_f32 v[8:9], v[26:27], v[14:15]
	v_sub_f32_e32 v6, v6, v7
	v_sub_f32_e32 v6, v6, v8
	;; [unrolled: 1-line block ×3, first 2 shown]
	s_waitcnt vmcnt(0)
	v_div_scale_f32 v7, s[4:5], v10, v10, v6
	v_rcp_f32_e32 v8, v7
	v_div_scale_f32 v9, vcc, v6, v10, v6
	v_fma_f32 v11, -v7, v8, 1.0
	v_fmac_f32_e32 v8, v11, v8
	v_mul_f32_e32 v11, v9, v8
	v_fma_f32 v12, -v7, v11, v9
	v_fmac_f32_e32 v11, v12, v8
	v_fma_f32 v7, -v7, v11, v9
	v_div_fmas_f32 v7, v7, v8, v11
	v_div_fixup_f32 v6, v7, v10, v6
	global_store_dword v[18:19], v6, off
	s_cbranch_scc1 .LBB2_6
.LBB2_7:
	s_endpgm
	.section	.rodata,"a",@progbits
	.p2align	6, 0x0
	.amdhsa_kernel _ZN9rocsparseL39gpsv_interleaved_batch_givens_qr_kernelILj128EfEEviiiPT0_S2_S2_S2_S2_S2_S2_S2_
		.amdhsa_group_segment_fixed_size 0
		.amdhsa_private_segment_fixed_size 0
		.amdhsa_kernarg_size 80
		.amdhsa_user_sgpr_count 2
		.amdhsa_user_sgpr_dispatch_ptr 0
		.amdhsa_user_sgpr_queue_ptr 0
		.amdhsa_user_sgpr_kernarg_segment_ptr 1
		.amdhsa_user_sgpr_dispatch_id 0
		.amdhsa_user_sgpr_kernarg_preload_length 0
		.amdhsa_user_sgpr_kernarg_preload_offset 0
		.amdhsa_user_sgpr_private_segment_size 0
		.amdhsa_uses_dynamic_stack 0
		.amdhsa_enable_private_segment 0
		.amdhsa_system_sgpr_workgroup_id_x 1
		.amdhsa_system_sgpr_workgroup_id_y 0
		.amdhsa_system_sgpr_workgroup_id_z 0
		.amdhsa_system_sgpr_workgroup_info 0
		.amdhsa_system_vgpr_workitem_id 0
		.amdhsa_next_free_vgpr 60
		.amdhsa_next_free_sgpr 26
		.amdhsa_accum_offset 60
		.amdhsa_reserve_vcc 1
		.amdhsa_float_round_mode_32 0
		.amdhsa_float_round_mode_16_64 0
		.amdhsa_float_denorm_mode_32 3
		.amdhsa_float_denorm_mode_16_64 3
		.amdhsa_dx10_clamp 1
		.amdhsa_ieee_mode 1
		.amdhsa_fp16_overflow 0
		.amdhsa_tg_split 0
		.amdhsa_exception_fp_ieee_invalid_op 0
		.amdhsa_exception_fp_denorm_src 0
		.amdhsa_exception_fp_ieee_div_zero 0
		.amdhsa_exception_fp_ieee_overflow 0
		.amdhsa_exception_fp_ieee_underflow 0
		.amdhsa_exception_fp_ieee_inexact 0
		.amdhsa_exception_int_div_zero 0
	.end_amdhsa_kernel
	.section	.text._ZN9rocsparseL39gpsv_interleaved_batch_givens_qr_kernelILj128EfEEviiiPT0_S2_S2_S2_S2_S2_S2_S2_,"axG",@progbits,_ZN9rocsparseL39gpsv_interleaved_batch_givens_qr_kernelILj128EfEEviiiPT0_S2_S2_S2_S2_S2_S2_S2_,comdat
.Lfunc_end2:
	.size	_ZN9rocsparseL39gpsv_interleaved_batch_givens_qr_kernelILj128EfEEviiiPT0_S2_S2_S2_S2_S2_S2_S2_, .Lfunc_end2-_ZN9rocsparseL39gpsv_interleaved_batch_givens_qr_kernelILj128EfEEviiiPT0_S2_S2_S2_S2_S2_S2_S2_
                                        ; -- End function
	.set _ZN9rocsparseL39gpsv_interleaved_batch_givens_qr_kernelILj128EfEEviiiPT0_S2_S2_S2_S2_S2_S2_S2_.num_vgpr, 60
	.set _ZN9rocsparseL39gpsv_interleaved_batch_givens_qr_kernelILj128EfEEviiiPT0_S2_S2_S2_S2_S2_S2_S2_.num_agpr, 0
	.set _ZN9rocsparseL39gpsv_interleaved_batch_givens_qr_kernelILj128EfEEviiiPT0_S2_S2_S2_S2_S2_S2_S2_.numbered_sgpr, 26
	.set _ZN9rocsparseL39gpsv_interleaved_batch_givens_qr_kernelILj128EfEEviiiPT0_S2_S2_S2_S2_S2_S2_S2_.num_named_barrier, 0
	.set _ZN9rocsparseL39gpsv_interleaved_batch_givens_qr_kernelILj128EfEEviiiPT0_S2_S2_S2_S2_S2_S2_S2_.private_seg_size, 0
	.set _ZN9rocsparseL39gpsv_interleaved_batch_givens_qr_kernelILj128EfEEviiiPT0_S2_S2_S2_S2_S2_S2_S2_.uses_vcc, 1
	.set _ZN9rocsparseL39gpsv_interleaved_batch_givens_qr_kernelILj128EfEEviiiPT0_S2_S2_S2_S2_S2_S2_S2_.uses_flat_scratch, 0
	.set _ZN9rocsparseL39gpsv_interleaved_batch_givens_qr_kernelILj128EfEEviiiPT0_S2_S2_S2_S2_S2_S2_S2_.has_dyn_sized_stack, 0
	.set _ZN9rocsparseL39gpsv_interleaved_batch_givens_qr_kernelILj128EfEEviiiPT0_S2_S2_S2_S2_S2_S2_S2_.has_recursion, 0
	.set _ZN9rocsparseL39gpsv_interleaved_batch_givens_qr_kernelILj128EfEEviiiPT0_S2_S2_S2_S2_S2_S2_S2_.has_indirect_call, 0
	.section	.AMDGPU.csdata,"",@progbits
; Kernel info:
; codeLenInByte = 3324
; TotalNumSgprs: 32
; NumVgprs: 60
; NumAgprs: 0
; TotalNumVgprs: 60
; ScratchSize: 0
; MemoryBound: 0
; FloatMode: 240
; IeeeMode: 1
; LDSByteSize: 0 bytes/workgroup (compile time only)
; SGPRBlocks: 3
; VGPRBlocks: 7
; NumSGPRsForWavesPerEU: 32
; NumVGPRsForWavesPerEU: 60
; AccumOffset: 60
; Occupancy: 8
; WaveLimiterHint : 0
; COMPUTE_PGM_RSRC2:SCRATCH_EN: 0
; COMPUTE_PGM_RSRC2:USER_SGPR: 2
; COMPUTE_PGM_RSRC2:TRAP_HANDLER: 0
; COMPUTE_PGM_RSRC2:TGID_X_EN: 1
; COMPUTE_PGM_RSRC2:TGID_Y_EN: 0
; COMPUTE_PGM_RSRC2:TGID_Z_EN: 0
; COMPUTE_PGM_RSRC2:TIDIG_COMP_CNT: 0
; COMPUTE_PGM_RSRC3_GFX90A:ACCUM_OFFSET: 14
; COMPUTE_PGM_RSRC3_GFX90A:TG_SPLIT: 0
	.section	.text._ZN9rocsparseL19gpsv_strided_gatherILj256EdEEviiiPKT0_PS1_,"axG",@progbits,_ZN9rocsparseL19gpsv_strided_gatherILj256EdEEviiiPKT0_PS1_,comdat
	.globl	_ZN9rocsparseL19gpsv_strided_gatherILj256EdEEviiiPKT0_PS1_ ; -- Begin function _ZN9rocsparseL19gpsv_strided_gatherILj256EdEEviiiPKT0_PS1_
	.p2align	8
	.type	_ZN9rocsparseL19gpsv_strided_gatherILj256EdEEviiiPKT0_PS1_,@function
_ZN9rocsparseL19gpsv_strided_gatherILj256EdEEviiiPKT0_PS1_: ; @_ZN9rocsparseL19gpsv_strided_gatherILj256EdEEviiiPKT0_PS1_
; %bb.0:
	s_load_dword s3, s[0:1], 0x2c
	s_load_dwordx4 s[4:7], s[0:1], 0x0
	s_waitcnt lgkmcnt(0)
	s_and_b32 s3, s3, 0xffff
	s_mul_i32 s2, s2, s3
	s_cmp_gt_i32 s4, 0
	v_add_u32_e32 v0, s2, v0
	v_cmp_gt_i32_e32 vcc, s5, v0
	s_cselect_b64 s[2:3], -1, 0
	s_and_b64 s[2:3], vcc, s[2:3]
	s_and_saveexec_b64 s[8:9], s[2:3]
	s_cbranch_execz .LBB3_3
; %bb.1:
	s_load_dwordx4 s[0:3], s[0:1], 0x10
	v_mov_b32_e32 v2, v0
.LBB3_2:                                ; =>This Inner Loop Header: Depth=1
	v_ashrrev_i32_e32 v1, 31, v0
	s_waitcnt lgkmcnt(0)
	v_lshl_add_u64 v[4:5], v[0:1], 3, s[0:1]
	global_load_dwordx2 v[4:5], v[4:5], off
	v_ashrrev_i32_e32 v3, 31, v2
	s_add_i32 s4, s4, -1
	v_lshl_add_u64 v[6:7], v[2:3], 3, s[2:3]
	v_add_u32_e32 v2, s5, v2
	s_cmp_lg_u32 s4, 0
	v_add_u32_e32 v0, s6, v0
	s_waitcnt vmcnt(0)
	global_store_dwordx2 v[6:7], v[4:5], off
	s_cbranch_scc1 .LBB3_2
.LBB3_3:
	s_endpgm
	.section	.rodata,"a",@progbits
	.p2align	6, 0x0
	.amdhsa_kernel _ZN9rocsparseL19gpsv_strided_gatherILj256EdEEviiiPKT0_PS1_
		.amdhsa_group_segment_fixed_size 0
		.amdhsa_private_segment_fixed_size 0
		.amdhsa_kernarg_size 288
		.amdhsa_user_sgpr_count 2
		.amdhsa_user_sgpr_dispatch_ptr 0
		.amdhsa_user_sgpr_queue_ptr 0
		.amdhsa_user_sgpr_kernarg_segment_ptr 1
		.amdhsa_user_sgpr_dispatch_id 0
		.amdhsa_user_sgpr_kernarg_preload_length 0
		.amdhsa_user_sgpr_kernarg_preload_offset 0
		.amdhsa_user_sgpr_private_segment_size 0
		.amdhsa_uses_dynamic_stack 0
		.amdhsa_enable_private_segment 0
		.amdhsa_system_sgpr_workgroup_id_x 1
		.amdhsa_system_sgpr_workgroup_id_y 0
		.amdhsa_system_sgpr_workgroup_id_z 0
		.amdhsa_system_sgpr_workgroup_info 0
		.amdhsa_system_vgpr_workitem_id 0
		.amdhsa_next_free_vgpr 8
		.amdhsa_next_free_sgpr 10
		.amdhsa_accum_offset 8
		.amdhsa_reserve_vcc 1
		.amdhsa_float_round_mode_32 0
		.amdhsa_float_round_mode_16_64 0
		.amdhsa_float_denorm_mode_32 3
		.amdhsa_float_denorm_mode_16_64 3
		.amdhsa_dx10_clamp 1
		.amdhsa_ieee_mode 1
		.amdhsa_fp16_overflow 0
		.amdhsa_tg_split 0
		.amdhsa_exception_fp_ieee_invalid_op 0
		.amdhsa_exception_fp_denorm_src 0
		.amdhsa_exception_fp_ieee_div_zero 0
		.amdhsa_exception_fp_ieee_overflow 0
		.amdhsa_exception_fp_ieee_underflow 0
		.amdhsa_exception_fp_ieee_inexact 0
		.amdhsa_exception_int_div_zero 0
	.end_amdhsa_kernel
	.section	.text._ZN9rocsparseL19gpsv_strided_gatherILj256EdEEviiiPKT0_PS1_,"axG",@progbits,_ZN9rocsparseL19gpsv_strided_gatherILj256EdEEviiiPKT0_PS1_,comdat
.Lfunc_end3:
	.size	_ZN9rocsparseL19gpsv_strided_gatherILj256EdEEviiiPKT0_PS1_, .Lfunc_end3-_ZN9rocsparseL19gpsv_strided_gatherILj256EdEEviiiPKT0_PS1_
                                        ; -- End function
	.set _ZN9rocsparseL19gpsv_strided_gatherILj256EdEEviiiPKT0_PS1_.num_vgpr, 8
	.set _ZN9rocsparseL19gpsv_strided_gatherILj256EdEEviiiPKT0_PS1_.num_agpr, 0
	.set _ZN9rocsparseL19gpsv_strided_gatherILj256EdEEviiiPKT0_PS1_.numbered_sgpr, 10
	.set _ZN9rocsparseL19gpsv_strided_gatherILj256EdEEviiiPKT0_PS1_.num_named_barrier, 0
	.set _ZN9rocsparseL19gpsv_strided_gatherILj256EdEEviiiPKT0_PS1_.private_seg_size, 0
	.set _ZN9rocsparseL19gpsv_strided_gatherILj256EdEEviiiPKT0_PS1_.uses_vcc, 1
	.set _ZN9rocsparseL19gpsv_strided_gatherILj256EdEEviiiPKT0_PS1_.uses_flat_scratch, 0
	.set _ZN9rocsparseL19gpsv_strided_gatherILj256EdEEviiiPKT0_PS1_.has_dyn_sized_stack, 0
	.set _ZN9rocsparseL19gpsv_strided_gatherILj256EdEEviiiPKT0_PS1_.has_recursion, 0
	.set _ZN9rocsparseL19gpsv_strided_gatherILj256EdEEviiiPKT0_PS1_.has_indirect_call, 0
	.section	.AMDGPU.csdata,"",@progbits
; Kernel info:
; codeLenInByte = 144
; TotalNumSgprs: 16
; NumVgprs: 8
; NumAgprs: 0
; TotalNumVgprs: 8
; ScratchSize: 0
; MemoryBound: 0
; FloatMode: 240
; IeeeMode: 1
; LDSByteSize: 0 bytes/workgroup (compile time only)
; SGPRBlocks: 1
; VGPRBlocks: 0
; NumSGPRsForWavesPerEU: 16
; NumVGPRsForWavesPerEU: 8
; AccumOffset: 8
; Occupancy: 8
; WaveLimiterHint : 0
; COMPUTE_PGM_RSRC2:SCRATCH_EN: 0
; COMPUTE_PGM_RSRC2:USER_SGPR: 2
; COMPUTE_PGM_RSRC2:TRAP_HANDLER: 0
; COMPUTE_PGM_RSRC2:TGID_X_EN: 1
; COMPUTE_PGM_RSRC2:TGID_Y_EN: 0
; COMPUTE_PGM_RSRC2:TGID_Z_EN: 0
; COMPUTE_PGM_RSRC2:TIDIG_COMP_CNT: 0
; COMPUTE_PGM_RSRC3_GFX90A:ACCUM_OFFSET: 1
; COMPUTE_PGM_RSRC3_GFX90A:TG_SPLIT: 0
	.section	.text._ZN9rocsparseL44gpsv_interleaved_batch_householder_qr_kernelILj256EdEEviiiPT0_S2_S2_S2_S2_S2_S2_S2_S2_,"axG",@progbits,_ZN9rocsparseL44gpsv_interleaved_batch_householder_qr_kernelILj256EdEEviiiPT0_S2_S2_S2_S2_S2_S2_S2_S2_,comdat
	.globl	_ZN9rocsparseL44gpsv_interleaved_batch_householder_qr_kernelILj256EdEEviiiPT0_S2_S2_S2_S2_S2_S2_S2_S2_ ; -- Begin function _ZN9rocsparseL44gpsv_interleaved_batch_householder_qr_kernelILj256EdEEviiiPT0_S2_S2_S2_S2_S2_S2_S2_S2_
	.p2align	8
	.type	_ZN9rocsparseL44gpsv_interleaved_batch_householder_qr_kernelILj256EdEEviiiPT0_S2_S2_S2_S2_S2_S2_S2_S2_,@function
_ZN9rocsparseL44gpsv_interleaved_batch_householder_qr_kernelILj256EdEEviiiPT0_S2_S2_S2_S2_S2_S2_S2_S2_: ; @_ZN9rocsparseL44gpsv_interleaved_batch_householder_qr_kernelILj256EdEEviiiPT0_S2_S2_S2_S2_S2_S2_S2_S2_
; %bb.0:
	s_load_dword s3, s[0:1], 0x64
	s_load_dwordx4 s[8:11], s[0:1], 0x0
	s_waitcnt lgkmcnt(0)
	s_and_b32 s3, s3, 0xffff
	s_mul_i32 s11, s2, s3
	v_add_u32_e32 v1, s11, v0
	v_cmp_gt_i32_e32 vcc, s9, v1
	s_and_saveexec_b64 s[2:3], vcc
	s_cbranch_execz .LBB4_24
; %bb.1:
	s_load_dwordx2 s[6:7], s[0:1], 0x50
	s_load_dwordx4 s[12:15], s[0:1], 0x40
	s_load_dwordx4 s[16:19], s[0:1], 0x20
	s_load_dwordx2 s[20:21], s[0:1], 0x30
	s_cmp_lt_i32 s8, 2
	s_cbranch_scc1 .LBB4_11
; %bb.2:
	s_load_dwordx2 s[4:5], s[0:1], 0x18
	s_add_i32 s28, s8, -2
	s_cmp_eq_u32 s28, 0
	s_mov_b32 s2, 0
	s_cbranch_scc1 .LBB4_8
; %bb.3:
	s_load_dwordx2 s[22:23], s[0:1], 0x10
	s_mov_b32 s24, 0
	v_add_u32_e32 v44, s9, v0
	v_lshl_add_u32 v45, s9, 1, v0
	v_lshl_add_u32 v46, s10, 1, v0
	v_add_u32_e32 v47, s10, v0
	s_mov_b32 s29, 0
	s_brev_b32 s25, 8
	v_mov_b32_e32 v48, 0x260
	v_mov_b32_e32 v49, 0x100
	;; [unrolled: 1-line block ×5, first 2 shown]
	s_branch .LBB4_5
.LBB4_4:                                ;   in Loop: Header=BB4_5 Depth=1
	s_or_b64 exec, exec, s[26:27]
	s_add_i32 s29, s29, 1
	v_add_u32_e32 v52, s9, v52
	v_add_u32_e32 v44, s9, v44
	;; [unrolled: 1-line block ×5, first 2 shown]
	s_cmp_eq_u32 s28, s29
	v_add_u32_e32 v51, s10, v51
	s_cbranch_scc1 .LBB4_7
.LBB4_5:                                ; =>This Inner Loop Header: Depth=1
	v_add_u32_e32 v6, s11, v46
	v_add_u32_e32 v8, s11, v47
	v_ashrrev_i32_e32 v7, 31, v6
	v_ashrrev_i32_e32 v9, 31, v8
	s_waitcnt lgkmcnt(0)
	v_lshl_add_u64 v[4:5], v[6:7], 3, s[22:23]
	v_lshl_add_u64 v[2:3], v[8:9], 3, s[4:5]
	global_load_dwordx2 v[14:15], v[4:5], off
	global_load_dwordx2 v[16:17], v[2:3], off
	s_waitcnt vmcnt(1)
	v_mul_f64 v[10:11], v[14:15], v[14:15]
	s_waitcnt vmcnt(0)
	v_fmac_f64_e32 v[10:11], v[16:17], v[16:17]
	v_cmp_neq_f64_e32 vcc, 0, v[10:11]
	s_and_saveexec_b64 s[26:27], vcc
	s_cbranch_execz .LBB4_4
; %bb.6:                                ;   in Loop: Header=BB4_5 Depth=1
	v_add_u32_e32 v12, s11, v51
	v_ashrrev_i32_e32 v13, 31, v12
	v_lshlrev_b64 v[12:13], 3, v[12:13]
	v_lshl_add_u64 v[20:21], s[16:17], 0, v[12:13]
	global_load_dwordx2 v[24:25], v[20:21], off
	v_lshlrev_b64 v[34:35], 3, v[8:9]
	v_lshl_add_u64 v[28:29], s[16:17], 0, v[34:35]
	global_load_dwordx2 v[32:33], v[28:29], off
	v_lshlrev_b64 v[36:37], 3, v[6:7]
	v_lshl_add_u64 v[8:9], s[4:5], 0, v[36:37]
	v_lshl_add_u64 v[26:27], s[18:19], 0, v[34:35]
	v_lshl_add_u64 v[6:7], s[16:17], 0, v[36:37]
	v_lshl_add_u64 v[34:35], s[20:21], 0, v[34:35]
	s_waitcnt vmcnt(1)
	v_fma_f64 v[18:19], v[24:25], v[24:25], v[10:11]
	v_cmp_gt_f64_e32 vcc, s[24:25], v[18:19]
	v_cmp_lt_f64_e64 s[2:3], 0, v[24:25]
	s_nop 0
	v_cndmask_b32_e32 v22, 0, v49, vcc
	v_ldexp_f64 v[18:19], v[18:19], v22
	v_rsq_f64_e32 v[22:23], v[18:19]
	v_cndmask_b32_e32 v40, 0, v50, vcc
	v_cmp_class_f64_e32 vcc, v[18:19], v48
	v_mul_f64 v[30:31], v[18:19], v[22:23]
	v_mul_f64 v[22:23], v[22:23], 0.5
	v_fma_f64 v[38:39], -v[22:23], v[30:31], 0.5
	v_fmac_f64_e32 v[30:31], v[30:31], v[38:39]
	v_fmac_f64_e32 v[22:23], v[22:23], v[38:39]
	v_fma_f64 v[38:39], -v[30:31], v[30:31], v[18:19]
	v_fmac_f64_e32 v[30:31], v[38:39], v[22:23]
	v_fma_f64 v[38:39], -v[30:31], v[30:31], v[18:19]
	v_fmac_f64_e32 v[30:31], v[38:39], v[22:23]
	v_ldexp_f64 v[22:23], v[30:31], v40
	v_cndmask_b32_e32 v19, v23, v19, vcc
	v_cndmask_b32_e32 v18, v22, v18, vcc
	v_xor_b32_e32 v22, 0x80000000, v19
	v_cndmask_b32_e64 v19, v22, v19, s[2:3]
	v_add_f64 v[22:23], v[24:25], v[18:19]
	v_div_scale_f64 v[18:19], s[2:3], v[22:23], v[22:23], v[16:17]
	v_rcp_f64_e32 v[40:41], v[18:19]
	v_div_scale_f64 v[30:31], vcc, v[16:17], v[22:23], v[16:17]
	v_div_scale_f64 v[38:39], s[2:3], v[22:23], v[22:23], v[14:15]
	v_fma_f64 v[56:57], -v[18:19], v[40:41], 1.0
	v_fmac_f64_e32 v[40:41], v[40:41], v[56:57]
	v_fma_f64 v[56:57], -v[18:19], v[40:41], 1.0
	v_fmac_f64_e32 v[40:41], v[40:41], v[56:57]
	v_mul_f64 v[56:57], v[30:31], v[40:41]
	v_fma_f64 v[18:19], -v[18:19], v[56:57], v[30:31]
	v_rcp_f64_e32 v[30:31], v[38:39]
	v_div_fmas_f64 v[40:41], v[18:19], v[40:41], v[56:57]
	v_mul_f64 v[54:55], v[22:23], v[22:23]
	v_div_scale_f64 v[42:43], s[2:3], v[14:15], v[22:23], v[14:15]
	v_fma_f64 v[56:57], -v[38:39], v[30:31], 1.0
	v_fmac_f64_e32 v[30:31], v[30:31], v[56:57]
	v_fma_f64 v[56:57], -v[38:39], v[30:31], 1.0
	v_fmac_f64_e32 v[10:11], v[22:23], v[22:23]
	v_add_f64 v[54:55], v[54:55], v[54:55]
	v_fmac_f64_e32 v[30:31], v[30:31], v[56:57]
	v_div_scale_f64 v[18:19], s[30:31], v[10:11], v[10:11], v[54:55]
	v_mul_f64 v[56:57], v[42:43], v[30:31]
	v_fma_f64 v[38:39], -v[38:39], v[56:57], v[42:43]
	v_rcp_f64_e32 v[42:43], v[18:19]
	s_mov_b64 vcc, s[2:3]
	v_div_fmas_f64 v[56:57], v[38:39], v[30:31], v[56:57]
	v_div_scale_f64 v[30:31], vcc, v[54:55], v[10:11], v[54:55]
	v_fma_f64 v[38:39], -v[18:19], v[42:43], 1.0
	v_fmac_f64_e32 v[42:43], v[42:43], v[38:39]
	v_fma_f64 v[38:39], -v[18:19], v[42:43], 1.0
	v_fmac_f64_e32 v[42:43], v[42:43], v[38:39]
	v_mul_f64 v[38:39], v[30:31], v[42:43]
	v_fma_f64 v[30:31], -v[18:19], v[38:39], v[30:31]
	v_div_fmas_f64 v[30:31], v[30:31], v[42:43], v[38:39]
	v_lshl_add_u64 v[42:43], s[18:19], 0, v[12:13]
	global_load_dwordx2 v[58:59], v[42:43], off
	global_load_dwordx2 v[18:19], v[8:9], off
	v_div_fixup_f64 v[30:31], v[30:31], v[10:11], v[54:55]
	v_lshl_add_u64 v[54:55], s[20:21], 0, v[12:13]
	global_load_dwordx2 v[38:39], v[26:27], off
	global_load_dwordx2 v[60:61], v[54:55], off
	v_div_fixup_f64 v[10:11], v[40:41], v[22:23], v[16:17]
	v_div_fixup_f64 v[12:13], v[56:57], v[22:23], v[14:15]
	global_load_dwordx2 v[22:23], v[6:7], off
	v_fma_f64 v[40:41], v[10:11], v[16:17], v[24:25]
	v_fmac_f64_e32 v[40:41], v[12:13], v[14:15]
	v_fma_f64 v[24:25], -v[40:41], v[30:31], v[24:25]
	v_lshl_add_u64 v[14:15], s[18:19], 0, v[36:37]
	global_store_dwordx2 v[20:21], v[24:25], off
	global_load_dwordx2 v[24:25], v[14:15], off
	v_lshl_add_u64 v[16:17], s[20:21], 0, v[36:37]
	global_load_dwordx2 v[36:37], v[34:35], off
	s_waitcnt vmcnt(7)
	v_fma_f64 v[40:41], v[10:11], v[32:33], v[58:59]
	s_waitcnt vmcnt(6)
	v_fmac_f64_e32 v[40:41], v[12:13], v[18:19]
	v_fma_f64 v[20:21], -v[40:41], v[30:31], v[58:59]
	global_store_dwordx2 v[42:43], v[20:21], off
	global_load_dwordx2 v[20:21], v[16:17], off
	s_waitcnt vmcnt(6)
	v_fma_f64 v[42:43], v[10:11], v[38:39], v[60:61]
	v_mul_f64 v[40:41], v[40:41], v[30:31]
	v_fma_f64 v[32:33], -v[40:41], v[10:11], v[32:33]
	s_waitcnt vmcnt(5)
	v_fmac_f64_e32 v[42:43], v[12:13], v[22:23]
	v_fma_f64 v[56:57], -v[42:43], v[30:31], v[60:61]
	global_store_dwordx2 v[54:55], v[56:57], off
	v_add_u32_e32 v54, s11, v52
	v_ashrrev_i32_e32 v55, 31, v54
	v_lshlrev_b64 v[54:55], 3, v[54:55]
	v_lshl_add_u64 v[58:59], s[12:13], 0, v[54:55]
	global_load_dwordx2 v[60:61], v[58:59], off
	v_add_u32_e32 v56, s11, v44
	v_ashrrev_i32_e32 v57, 31, v56
	v_lshlrev_b64 v[56:57], 3, v[56:57]
	v_lshl_add_u64 v[64:65], s[12:13], 0, v[56:57]
	global_load_dwordx2 v[66:67], v[64:65], off
	v_fma_f64 v[18:19], -v[40:41], v[12:13], v[18:19]
	global_store_dwordx2 v[28:29], v[32:33], off
	v_mul_f64 v[28:29], v[42:43], v[30:31]
	v_fma_f64 v[32:33], -v[28:29], v[10:11], v[38:39]
	global_store_dwordx2 v[26:27], v[32:33], off
	v_add_u32_e32 v26, s11, v45
	v_ashrrev_i32_e32 v27, 31, v26
	v_lshl_add_u64 v[32:33], s[6:7], 0, v[56:57]
	v_lshl_add_u64 v[26:27], v[26:27], 3, s[6:7]
	global_store_dwordx2 v[2:3], v[10:11], off
	global_store_dwordx2 v[4:5], v[12:13], off
	v_fma_f64 v[22:23], -v[28:29], v[12:13], v[22:23]
	global_store_dwordx2 v[8:9], v[18:19], off
	s_waitcnt vmcnt(6)
	v_fma_f64 v[62:63], v[10:11], v[36:37], v[60:61]
	v_fmac_f64_e32 v[62:63], v[12:13], v[24:25]
	v_fma_f64 v[60:61], -v[62:63], v[30:31], v[60:61]
	global_store_dwordx2 v[58:59], v[60:61], off
	v_lshl_add_u64 v[58:59], s[14:15], 0, v[54:55]
	global_load_dwordx2 v[60:61], v[58:59], off
	v_mul_f64 v[38:39], v[62:63], v[30:31]
	v_fma_f64 v[36:37], -v[38:39], v[10:11], v[36:37]
	global_store_dwordx2 v[34:35], v[36:37], off
	v_lshl_add_u64 v[36:37], s[6:7], 0, v[54:55]
	global_load_dwordx2 v[34:35], v[32:33], off
	global_load_dwordx2 v[42:43], v[36:37], off
	global_load_dwordx2 v[2:3], v[26:27], off
	global_load_dwordx2 v[4:5], v[64:65], off
	v_fma_f64 v[54:55], v[10:11], v[10:11], 1.0
	v_fmac_f64_e32 v[54:55], v[12:13], v[12:13]
	v_div_scale_f64 v[28:29], s[2:3], v[54:55], v[54:55], 2.0
	v_rcp_f64_e32 v[8:9], v[28:29]
	v_fma_f64 v[24:25], -v[38:39], v[12:13], v[24:25]
	v_div_scale_f64 v[38:39], vcc, 2.0, v[54:55], 2.0
	s_waitcnt vmcnt(5)
	v_fma_f64 v[66:67], v[10:11], v[66:67], v[60:61]
	v_fmac_f64_e32 v[66:67], v[12:13], v[20:21]
	v_fma_f64 v[60:61], -v[66:67], v[30:31], v[60:61]
	v_mul_f64 v[30:31], v[66:67], v[30:31]
	global_store_dwordx2 v[58:59], v[60:61], off
	v_fma_f64 v[18:19], -v[30:31], v[12:13], v[20:21]
	global_store_dwordx2 v[6:7], v[22:23], off
	global_store_dwordx2 v[14:15], v[24:25], off
	;; [unrolled: 1-line block ×3, first 2 shown]
	v_fma_f64 v[6:7], -v[28:29], v[8:9], 1.0
	v_fmac_f64_e32 v[8:9], v[8:9], v[6:7]
	v_fma_f64 v[6:7], -v[28:29], v[8:9], 1.0
	v_fmac_f64_e32 v[8:9], v[8:9], v[6:7]
	v_mul_f64 v[6:7], v[38:39], v[8:9]
	v_fma_f64 v[14:15], -v[28:29], v[6:7], v[38:39]
	s_waitcnt vmcnt(6)
	v_fma_f64 v[40:41], v[10:11], v[34:35], v[42:43]
	v_div_fmas_f64 v[6:7], v[14:15], v[8:9], v[6:7]
	s_waitcnt vmcnt(5)
	v_fmac_f64_e32 v[40:41], v[12:13], v[2:3]
	v_div_fixup_f64 v[6:7], v[6:7], v[54:55], 2.0
	v_mul_f64 v[8:9], v[40:41], v[6:7]
	v_fma_f64 v[6:7], -v[40:41], v[6:7], v[42:43]
	global_store_dwordx2 v[36:37], v[6:7], off
	v_fma_f64 v[6:7], -v[10:11], v[8:9], v[34:35]
	s_waitcnt vmcnt(5)
	v_fma_f64 v[4:5], -v[30:31], v[10:11], v[4:5]
	v_fma_f64 v[2:3], -v[12:13], v[8:9], v[2:3]
	global_store_dwordx2 v[32:33], v[6:7], off
	global_store_dwordx2 v[64:65], v[4:5], off
	;; [unrolled: 1-line block ×3, first 2 shown]
	s_branch .LBB4_4
.LBB4_7:
	s_mov_b32 s2, s28
.LBB4_8:
	s_mul_i32 s3, s2, s10
	v_add_u32_e32 v6, s3, v1
	v_add_u32_e32 v10, s10, v6
	v_ashrrev_i32_e32 v11, 31, v10
	s_waitcnt lgkmcnt(0)
	v_lshl_add_u64 v[2:3], v[10:11], 3, s[4:5]
	global_load_dwordx2 v[4:5], v[2:3], off
	s_waitcnt vmcnt(0)
	v_fma_f64 v[16:17], v[4:5], v[4:5], 0
	v_cmp_neq_f64_e32 vcc, 0, v[16:17]
	s_and_saveexec_b64 s[22:23], vcc
	s_cbranch_execz .LBB4_10
; %bb.9:
	v_ashrrev_i32_e32 v7, 31, v6
	v_lshlrev_b64 v[24:25], 3, v[6:7]
	v_lshl_add_u64 v[6:7], s[16:17], 0, v[24:25]
	global_load_dwordx2 v[8:9], v[6:7], off
	s_mul_i32 s4, s2, s9
	v_add_u32_e32 v26, s4, v1
	v_ashrrev_i32_e32 v27, 31, v26
	v_lshlrev_b64 v[14:15], 3, v[10:11]
	v_add_u32_e32 v28, s9, v26
	v_lshlrev_b64 v[26:27], 3, v[26:27]
	v_lshl_add_u64 v[10:11], s[16:17], 0, v[14:15]
	v_lshl_add_u64 v[32:33], s[12:13], 0, v[26:27]
	;; [unrolled: 1-line block ×4, first 2 shown]
	global_load_dwordx2 v[18:19], v[10:11], off
	global_load_dwordx2 v[20:21], v[12:13], off
	;; [unrolled: 1-line block ×4, first 2 shown]
	s_mov_b32 s2, 0
	s_brev_b32 s3, 8
	v_mov_b32_e32 v50, 0x100
	v_mov_b32_e32 v56, 0xffffff80
	;; [unrolled: 1-line block ×3, first 2 shown]
	v_ashrrev_i32_e32 v29, 31, v28
	v_lshlrev_b64 v[28:29], 3, v[28:29]
	v_lshl_add_u64 v[30:31], s[18:19], 0, v[24:25]
	v_lshl_add_u64 v[40:41], s[14:15], 0, v[26:27]
	;; [unrolled: 1-line block ×5, first 2 shown]
	global_load_dwordx2 v[36:37], v[30:31], off
	global_load_dwordx2 v[38:39], v[24:25], off
	v_lshl_add_u64 v[26:27], s[6:7], 0, v[26:27]
	global_load_dwordx2 v[44:45], v[40:41], off
	global_load_dwordx2 v[46:47], v[26:27], off
	;; [unrolled: 1-line block ×4, first 2 shown]
	s_waitcnt vmcnt(10)
	v_fma_f64 v[48:49], v[8:9], v[8:9], v[16:17]
	v_cmp_gt_f64_e32 vcc, s[2:3], v[48:49]
	s_nop 1
	v_cndmask_b32_e32 v1, 0, v50, vcc
	v_ldexp_f64 v[48:49], v[48:49], v1
	v_rsq_f64_e32 v[50:51], v[48:49]
	v_cndmask_b32_e32 v1, 0, v56, vcc
	v_cmp_class_f64_e32 vcc, v[48:49], v60
	v_mul_f64 v[56:57], v[48:49], v[50:51]
	v_mul_f64 v[50:51], v[50:51], 0.5
	v_fma_f64 v[58:59], -v[50:51], v[56:57], 0.5
	v_fmac_f64_e32 v[56:57], v[56:57], v[58:59]
	v_fmac_f64_e32 v[50:51], v[50:51], v[58:59]
	v_fma_f64 v[58:59], -v[56:57], v[56:57], v[48:49]
	v_fmac_f64_e32 v[56:57], v[58:59], v[50:51]
	v_fma_f64 v[58:59], -v[56:57], v[56:57], v[48:49]
	v_fmac_f64_e32 v[56:57], v[58:59], v[50:51]
	v_ldexp_f64 v[50:51], v[56:57], v1
	v_cndmask_b32_e32 v1, v51, v49, vcc
	v_cndmask_b32_e32 v48, v50, v48, vcc
	v_xor_b32_e32 v49, 0x80000000, v1
	v_cmp_lt_f64_e32 vcc, 0, v[8:9]
	s_nop 1
	v_cndmask_b32_e32 v49, v49, v1, vcc
	v_add_f64 v[48:49], v[8:9], v[48:49]
	v_div_scale_f64 v[50:51], s[2:3], v[48:49], v[48:49], v[4:5]
	v_rcp_f64_e32 v[64:65], v[50:51]
	v_div_scale_f64 v[58:59], s[2:3], v[48:49], v[48:49], 0
	v_div_scale_f64 v[56:57], vcc, v[4:5], v[48:49], v[4:5]
	v_fma_f64 v[68:69], -v[50:51], v[64:65], 1.0
	v_fmac_f64_e32 v[64:65], v[64:65], v[68:69]
	v_fma_f64 v[68:69], -v[50:51], v[64:65], 1.0
	v_mul_f64 v[62:63], v[48:49], v[48:49]
	v_rcp_f64_e32 v[66:67], v[58:59]
	v_fmac_f64_e32 v[64:65], v[64:65], v[68:69]
	v_fmac_f64_e32 v[16:17], v[48:49], v[48:49]
	v_add_f64 v[62:63], v[62:63], v[62:63]
	v_mul_f64 v[68:69], v[56:57], v[64:65]
	v_fma_f64 v[50:51], -v[50:51], v[68:69], v[56:57]
	v_div_scale_f64 v[56:57], s[4:5], v[16:17], v[16:17], v[62:63]
	v_div_fmas_f64 v[50:51], v[50:51], v[64:65], v[68:69]
	v_rcp_f64_e32 v[64:65], v[56:57]
	v_fma_f64 v[68:69], -v[58:59], v[66:67], 1.0
	v_fmac_f64_e32 v[66:67], v[66:67], v[68:69]
	v_fma_f64 v[68:69], -v[58:59], v[66:67], 1.0
	v_div_scale_f64 v[60:61], s[2:3], 0, v[48:49], 0
	v_fmac_f64_e32 v[66:67], v[66:67], v[68:69]
	v_fma_f64 v[68:69], -v[56:57], v[64:65], 1.0
	v_fmac_f64_e32 v[64:65], v[64:65], v[68:69]
	v_mul_f64 v[68:69], v[60:61], v[66:67]
	v_fma_f64 v[58:59], -v[58:59], v[68:69], v[60:61]
	v_fma_f64 v[60:61], -v[56:57], v[64:65], 1.0
	v_fmac_f64_e32 v[64:65], v[64:65], v[60:61]
	v_div_scale_f64 v[60:61], s[4:5], v[62:63], v[16:17], v[62:63]
	s_mov_b64 vcc, s[2:3]
	v_div_fmas_f64 v[58:59], v[58:59], v[66:67], v[68:69]
	v_mul_f64 v[66:67], v[60:61], v[64:65]
	v_fma_f64 v[56:57], -v[56:57], v[66:67], v[60:61]
	v_div_fixup_f64 v[50:51], v[50:51], v[48:49], v[4:5]
	s_mov_b64 vcc, s[4:5]
	v_div_fmas_f64 v[56:57], v[56:57], v[64:65], v[66:67]
	v_div_fixup_f64 v[48:49], v[58:59], v[48:49], 0
	s_waitcnt vmcnt(6)
	v_fma_f64 v[58:59], v[50:51], v[22:23], v[34:35]
	v_div_fixup_f64 v[16:17], v[56:57], v[16:17], v[62:63]
	v_fmac_f64_e32 v[58:59], 0, v[48:49]
	v_fma_f64 v[34:35], -v[58:59], v[16:17], v[34:35]
	global_store_dwordx2 v[32:33], v[34:35], off
	global_load_dwordx2 v[32:33], v[28:29], off
	v_fma_f64 v[34:35], v[50:51], v[50:51], 1.0
	v_fma_f64 v[4:5], v[50:51], v[4:5], v[8:9]
	s_waitcnt vmcnt(7)
	v_fma_f64 v[56:57], v[50:51], v[18:19], v[36:37]
	s_waitcnt vmcnt(6)
	;; [unrolled: 2-line block ×3, first 2 shown]
	v_fma_f64 v[52:53], v[50:51], v[52:53], v[44:45]
	global_store_dwordx2 v[2:3], v[50:51], off
	s_waitcnt vmcnt(3)
	v_fma_f64 v[2:3], v[50:51], v[54:55], v[46:47]
	v_fmac_f64_e32 v[34:35], v[48:49], v[48:49]
	v_fmac_f64_e32 v[4:5], 0, v[48:49]
	;; [unrolled: 1-line block ×6, first 2 shown]
	v_div_scale_f64 v[48:49], s[2:3], v[34:35], v[34:35], 2.0
	v_fma_f64 v[4:5], -v[4:5], v[16:17], v[8:9]
	v_fma_f64 v[36:37], -v[56:57], v[16:17], v[36:37]
	v_mul_f64 v[56:57], v[56:57], v[16:17]
	v_fma_f64 v[38:39], -v[60:61], v[16:17], v[38:39]
	v_mul_f64 v[60:61], v[60:61], v[16:17]
	v_mul_f64 v[58:59], v[58:59], v[16:17]
	v_fma_f64 v[44:45], -v[52:53], v[16:17], v[44:45]
	v_mul_f64 v[16:17], v[52:53], v[16:17]
	v_rcp_f64_e32 v[52:53], v[48:49]
	global_store_dwordx2 v[6:7], v[4:5], off
	global_store_dwordx2 v[30:31], v[36:37], off
	;; [unrolled: 1-line block ×4, first 2 shown]
	v_fma_f64 v[4:5], -v[56:57], v[50:51], v[18:19]
	v_fma_f64 v[6:7], -v[60:61], v[50:51], v[20:21]
	;; [unrolled: 1-line block ×3, first 2 shown]
	global_store_dwordx2 v[10:11], v[4:5], off
	global_store_dwordx2 v[12:13], v[6:7], off
	;; [unrolled: 1-line block ×3, first 2 shown]
	v_fma_f64 v[4:5], -v[48:49], v[52:53], 1.0
	v_fmac_f64_e32 v[52:53], v[52:53], v[4:5]
	v_fma_f64 v[4:5], -v[48:49], v[52:53], 1.0
	v_div_scale_f64 v[8:9], vcc, 2.0, v[34:35], 2.0
	v_fmac_f64_e32 v[52:53], v[52:53], v[4:5]
	v_mul_f64 v[4:5], v[8:9], v[52:53]
	v_fma_f64 v[6:7], -v[48:49], v[4:5], v[8:9]
	s_nop 0
	v_div_fmas_f64 v[4:5], v[6:7], v[52:53], v[4:5]
	v_div_fixup_f64 v[4:5], v[4:5], v[34:35], 2.0
	v_mul_f64 v[6:7], v[2:3], v[4:5]
	v_fma_f64 v[2:3], -v[2:3], v[4:5], v[46:47]
	global_store_dwordx2 v[26:27], v[2:3], off
	v_fma_f64 v[2:3], -v[50:51], v[6:7], v[54:55]
	s_waitcnt vmcnt(9)
	v_fma_f64 v[4:5], -v[16:17], v[50:51], v[32:33]
	global_store_dwordx2 v[28:29], v[4:5], off
	global_store_dwordx2 v[42:43], v[2:3], off
.LBB4_10:
	s_or_b64 exec, exec, s[22:23]
.LBB4_11:
	s_cmp_lt_i32 s8, 1
	s_cbranch_scc1 .LBB4_24
; %bb.12:
	s_mul_i32 s2, s10, s8
	v_add_u32_e32 v6, s2, v0
	s_add_i32 s2, s8, 3
	s_mul_i32 s2, s10, s2
	v_add_u32_e32 v7, s2, v0
	s_add_i32 s2, s8, 2
	s_mul_i32 s2, s10, s2
	s_load_dwordx2 s[0:1], s[0:1], 0x38
	v_add_u32_e32 v8, s2, v0
	s_add_i32 s2, s8, 1
	s_mul_i32 s2, s10, s2
	v_add_u32_e32 v9, s2, v0
	s_add_i32 s2, s8, -1
	s_mul_i32 s3, s10, s2
	s_mul_i32 s2, s9, s2
	v_add_u32_e32 v10, s3, v0
	v_add_u32_e32 v11, s2, v0
	s_mov_b32 s4, s8
	s_branch .LBB4_14
.LBB4_13:                               ;   in Loop: Header=BB4_14 Depth=1
	s_waitcnt lgkmcnt(0)
	v_lshl_add_u64 v[4:5], v[4:5], 3, s[6:7]
	v_lshlrev_b64 v[2:3], 3, v[2:3]
	global_load_dwordx2 v[4:5], v[4:5], off
	v_lshl_add_u64 v[12:13], s[16:17], 0, v[2:3]
	global_load_dwordx2 v[12:13], v[12:13], off
	s_add_i32 s5, s4, -1
	v_subrev_u32_e32 v6, s10, v6
	v_subrev_u32_e32 v7, s10, v7
	;; [unrolled: 1-line block ×6, first 2 shown]
	v_lshl_add_u64 v[2:3], s[0:1], 0, v[2:3]
	s_cmp_gt_u32 s4, 1
	s_mov_b32 s4, s5
	s_waitcnt vmcnt(1)
	v_add_f64 v[0:1], v[4:5], -v[0:1]
	s_waitcnt vmcnt(0)
	v_div_scale_f64 v[4:5], s[2:3], v[12:13], v[12:13], v[0:1]
	v_rcp_f64_e32 v[14:15], v[4:5]
	v_div_scale_f64 v[16:17], vcc, v[0:1], v[12:13], v[0:1]
	v_fma_f64 v[18:19], -v[4:5], v[14:15], 1.0
	v_fmac_f64_e32 v[14:15], v[14:15], v[18:19]
	v_fma_f64 v[18:19], -v[4:5], v[14:15], 1.0
	v_fmac_f64_e32 v[14:15], v[14:15], v[18:19]
	v_mul_f64 v[18:19], v[16:17], v[14:15]
	v_fma_f64 v[4:5], -v[4:5], v[18:19], v[16:17]
	v_div_fmas_f64 v[4:5], v[4:5], v[14:15], v[18:19]
	v_div_fixup_f64 v[0:1], v[4:5], v[12:13], v[0:1]
	global_store_dwordx2 v[2:3], v[0:1], off
	s_cbranch_scc0 .LBB4_24
.LBB4_14:                               ; =>This Inner Loop Header: Depth=1
	v_add_u32_e32 v2, s11, v10
	s_cmp_ge_i32 s4, s8
	v_ashrrev_i32_e32 v3, 31, v2
	v_mov_b64_e32 v[0:1], 0
	s_cbranch_scc1 .LBB4_16
; %bb.15:                               ;   in Loop: Header=BB4_14 Depth=1
	v_add_u32_e32 v4, s11, v6
	v_ashrrev_i32_e32 v5, 31, v4
	s_waitcnt lgkmcnt(0)
	v_lshl_add_u64 v[0:1], v[2:3], 3, s[18:19]
	v_lshl_add_u64 v[4:5], v[4:5], 3, s[0:1]
	global_load_dwordx2 v[0:1], v[0:1], off
	s_nop 0
	global_load_dwordx2 v[4:5], v[4:5], off
	s_waitcnt vmcnt(0)
	v_fma_f64 v[0:1], v[0:1], v[4:5], 0
.LBB4_16:                               ;   in Loop: Header=BB4_14 Depth=1
	s_add_i32 s5, s4, 1
	s_cmp_ge_i32 s5, s8
	s_cbranch_scc1 .LBB4_18
; %bb.17:                               ;   in Loop: Header=BB4_14 Depth=1
	v_add_u32_e32 v12, s11, v9
	v_ashrrev_i32_e32 v13, 31, v12
	s_waitcnt lgkmcnt(0)
	v_lshl_add_u64 v[4:5], v[2:3], 3, s[20:21]
	v_lshl_add_u64 v[12:13], v[12:13], 3, s[0:1]
	global_load_dwordx2 v[4:5], v[4:5], off
	s_nop 0
	global_load_dwordx2 v[12:13], v[12:13], off
	s_waitcnt vmcnt(0)
	v_fmac_f64_e32 v[0:1], v[4:5], v[12:13]
.LBB4_18:                               ;   in Loop: Header=BB4_14 Depth=1
	s_add_i32 s5, s5, 1
	v_add_u32_e32 v4, s11, v11
	s_cmp_lt_i32 s5, s8
	s_mov_b64 s[2:3], -1
	s_cbranch_scc0 .LBB4_21
; %bb.19:                               ;   in Loop: Header=BB4_14 Depth=1
	s_andn2_b64 vcc, exec, s[2:3]
	s_cbranch_vccz .LBB4_22
.LBB4_20:                               ;   in Loop: Header=BB4_14 Depth=1
	s_add_i32 s5, s5, 1
	s_cmp_ge_i32 s5, s8
	s_cbranch_scc1 .LBB4_13
	s_branch .LBB4_23
.LBB4_21:                               ;   in Loop: Header=BB4_14 Depth=1
	v_ashrrev_i32_e32 v5, 31, v4
	s_cbranch_execnz .LBB4_20
.LBB4_22:                               ;   in Loop: Header=BB4_14 Depth=1
	v_add_u32_e32 v14, s11, v8
	v_ashrrev_i32_e32 v5, 31, v4
	v_ashrrev_i32_e32 v15, 31, v14
	s_waitcnt lgkmcnt(0)
	v_lshl_add_u64 v[12:13], v[4:5], 3, s[12:13]
	v_lshl_add_u64 v[14:15], v[14:15], 3, s[0:1]
	global_load_dwordx2 v[12:13], v[12:13], off
	s_nop 0
	global_load_dwordx2 v[14:15], v[14:15], off
	s_waitcnt vmcnt(0)
	v_fmac_f64_e32 v[0:1], v[12:13], v[14:15]
	s_add_i32 s5, s5, 1
	s_cmp_ge_i32 s5, s8
	s_cbranch_scc1 .LBB4_13
.LBB4_23:                               ;   in Loop: Header=BB4_14 Depth=1
	v_add_u32_e32 v14, s11, v7
	v_ashrrev_i32_e32 v15, 31, v14
	s_waitcnt lgkmcnt(0)
	v_lshl_add_u64 v[12:13], v[4:5], 3, s[14:15]
	v_lshl_add_u64 v[14:15], v[14:15], 3, s[0:1]
	global_load_dwordx2 v[12:13], v[12:13], off
	s_nop 0
	global_load_dwordx2 v[14:15], v[14:15], off
	s_waitcnt vmcnt(0)
	v_fmac_f64_e32 v[0:1], v[12:13], v[14:15]
	s_branch .LBB4_13
.LBB4_24:
	s_endpgm
	.section	.rodata,"a",@progbits
	.p2align	6, 0x0
	.amdhsa_kernel _ZN9rocsparseL44gpsv_interleaved_batch_householder_qr_kernelILj256EdEEviiiPT0_S2_S2_S2_S2_S2_S2_S2_S2_
		.amdhsa_group_segment_fixed_size 0
		.amdhsa_private_segment_fixed_size 0
		.amdhsa_kernarg_size 344
		.amdhsa_user_sgpr_count 2
		.amdhsa_user_sgpr_dispatch_ptr 0
		.amdhsa_user_sgpr_queue_ptr 0
		.amdhsa_user_sgpr_kernarg_segment_ptr 1
		.amdhsa_user_sgpr_dispatch_id 0
		.amdhsa_user_sgpr_kernarg_preload_length 0
		.amdhsa_user_sgpr_kernarg_preload_offset 0
		.amdhsa_user_sgpr_private_segment_size 0
		.amdhsa_uses_dynamic_stack 0
		.amdhsa_enable_private_segment 0
		.amdhsa_system_sgpr_workgroup_id_x 1
		.amdhsa_system_sgpr_workgroup_id_y 0
		.amdhsa_system_sgpr_workgroup_id_z 0
		.amdhsa_system_sgpr_workgroup_info 0
		.amdhsa_system_vgpr_workitem_id 0
		.amdhsa_next_free_vgpr 70
		.amdhsa_next_free_sgpr 32
		.amdhsa_accum_offset 72
		.amdhsa_reserve_vcc 1
		.amdhsa_float_round_mode_32 0
		.amdhsa_float_round_mode_16_64 0
		.amdhsa_float_denorm_mode_32 3
		.amdhsa_float_denorm_mode_16_64 3
		.amdhsa_dx10_clamp 1
		.amdhsa_ieee_mode 1
		.amdhsa_fp16_overflow 0
		.amdhsa_tg_split 0
		.amdhsa_exception_fp_ieee_invalid_op 0
		.amdhsa_exception_fp_denorm_src 0
		.amdhsa_exception_fp_ieee_div_zero 0
		.amdhsa_exception_fp_ieee_overflow 0
		.amdhsa_exception_fp_ieee_underflow 0
		.amdhsa_exception_fp_ieee_inexact 0
		.amdhsa_exception_int_div_zero 0
	.end_amdhsa_kernel
	.section	.text._ZN9rocsparseL44gpsv_interleaved_batch_householder_qr_kernelILj256EdEEviiiPT0_S2_S2_S2_S2_S2_S2_S2_S2_,"axG",@progbits,_ZN9rocsparseL44gpsv_interleaved_batch_householder_qr_kernelILj256EdEEviiiPT0_S2_S2_S2_S2_S2_S2_S2_S2_,comdat
.Lfunc_end4:
	.size	_ZN9rocsparseL44gpsv_interleaved_batch_householder_qr_kernelILj256EdEEviiiPT0_S2_S2_S2_S2_S2_S2_S2_S2_, .Lfunc_end4-_ZN9rocsparseL44gpsv_interleaved_batch_householder_qr_kernelILj256EdEEviiiPT0_S2_S2_S2_S2_S2_S2_S2_S2_
                                        ; -- End function
	.set _ZN9rocsparseL44gpsv_interleaved_batch_householder_qr_kernelILj256EdEEviiiPT0_S2_S2_S2_S2_S2_S2_S2_S2_.num_vgpr, 70
	.set _ZN9rocsparseL44gpsv_interleaved_batch_householder_qr_kernelILj256EdEEviiiPT0_S2_S2_S2_S2_S2_S2_S2_S2_.num_agpr, 0
	.set _ZN9rocsparseL44gpsv_interleaved_batch_householder_qr_kernelILj256EdEEviiiPT0_S2_S2_S2_S2_S2_S2_S2_S2_.numbered_sgpr, 32
	.set _ZN9rocsparseL44gpsv_interleaved_batch_householder_qr_kernelILj256EdEEviiiPT0_S2_S2_S2_S2_S2_S2_S2_S2_.num_named_barrier, 0
	.set _ZN9rocsparseL44gpsv_interleaved_batch_householder_qr_kernelILj256EdEEviiiPT0_S2_S2_S2_S2_S2_S2_S2_S2_.private_seg_size, 0
	.set _ZN9rocsparseL44gpsv_interleaved_batch_householder_qr_kernelILj256EdEEviiiPT0_S2_S2_S2_S2_S2_S2_S2_S2_.uses_vcc, 1
	.set _ZN9rocsparseL44gpsv_interleaved_batch_householder_qr_kernelILj256EdEEviiiPT0_S2_S2_S2_S2_S2_S2_S2_S2_.uses_flat_scratch, 0
	.set _ZN9rocsparseL44gpsv_interleaved_batch_householder_qr_kernelILj256EdEEviiiPT0_S2_S2_S2_S2_S2_S2_S2_S2_.has_dyn_sized_stack, 0
	.set _ZN9rocsparseL44gpsv_interleaved_batch_householder_qr_kernelILj256EdEEviiiPT0_S2_S2_S2_S2_S2_S2_S2_S2_.has_recursion, 0
	.set _ZN9rocsparseL44gpsv_interleaved_batch_householder_qr_kernelILj256EdEEviiiPT0_S2_S2_S2_S2_S2_S2_S2_S2_.has_indirect_call, 0
	.section	.AMDGPU.csdata,"",@progbits
; Kernel info:
; codeLenInByte = 3332
; TotalNumSgprs: 38
; NumVgprs: 70
; NumAgprs: 0
; TotalNumVgprs: 70
; ScratchSize: 0
; MemoryBound: 0
; FloatMode: 240
; IeeeMode: 1
; LDSByteSize: 0 bytes/workgroup (compile time only)
; SGPRBlocks: 4
; VGPRBlocks: 8
; NumSGPRsForWavesPerEU: 38
; NumVGPRsForWavesPerEU: 70
; AccumOffset: 72
; Occupancy: 7
; WaveLimiterHint : 0
; COMPUTE_PGM_RSRC2:SCRATCH_EN: 0
; COMPUTE_PGM_RSRC2:USER_SGPR: 2
; COMPUTE_PGM_RSRC2:TRAP_HANDLER: 0
; COMPUTE_PGM_RSRC2:TGID_X_EN: 1
; COMPUTE_PGM_RSRC2:TGID_Y_EN: 0
; COMPUTE_PGM_RSRC2:TGID_Z_EN: 0
; COMPUTE_PGM_RSRC2:TIDIG_COMP_CNT: 0
; COMPUTE_PGM_RSRC3_GFX90A:ACCUM_OFFSET: 17
; COMPUTE_PGM_RSRC3_GFX90A:TG_SPLIT: 0
	.section	.text._ZN9rocsparseL39gpsv_interleaved_batch_givens_qr_kernelILj128EdEEviiiPT0_S2_S2_S2_S2_S2_S2_S2_,"axG",@progbits,_ZN9rocsparseL39gpsv_interleaved_batch_givens_qr_kernelILj128EdEEviiiPT0_S2_S2_S2_S2_S2_S2_S2_,comdat
	.globl	_ZN9rocsparseL39gpsv_interleaved_batch_givens_qr_kernelILj128EdEEviiiPT0_S2_S2_S2_S2_S2_S2_S2_ ; -- Begin function _ZN9rocsparseL39gpsv_interleaved_batch_givens_qr_kernelILj128EdEEviiiPT0_S2_S2_S2_S2_S2_S2_S2_
	.p2align	8
	.type	_ZN9rocsparseL39gpsv_interleaved_batch_givens_qr_kernelILj128EdEEviiiPT0_S2_S2_S2_S2_S2_S2_S2_,@function
_ZN9rocsparseL39gpsv_interleaved_batch_givens_qr_kernelILj128EdEEviiiPT0_S2_S2_S2_S2_S2_S2_S2_: ; @_ZN9rocsparseL39gpsv_interleaved_batch_givens_qr_kernelILj128EdEEviiiPT0_S2_S2_S2_S2_S2_S2_S2_
; %bb.0:
	s_load_dwordx4 s[12:15], s[0:1], 0x0
	s_waitcnt lgkmcnt(0)
	s_lshl_b32 s15, s2, 7
	v_or_b32_e32 v1, s15, v0
	v_cmp_gt_i32_e32 vcc, s13, v1
	s_and_saveexec_b64 s[2:3], vcc
	s_cbranch_execz .LBB5_7
; %bb.1:
	s_load_dwordx2 s[2:3], s[0:1], 0x48
	s_load_dwordx4 s[16:19], s[0:1], 0x38
	s_load_dwordx8 s[4:11], s[0:1], 0x18
	s_add_i32 s24, s12, -2
	s_cmp_lt_i32 s12, 3
	s_cbranch_scc1 .LBB5_4
; %bb.2:
	s_load_dwordx2 s[20:21], s[0:1], 0x10
	s_mov_b32 s22, 0
	s_lshl_b32 s25, s14, 1
	s_brev_b32 s23, 8
	v_mov_b32_e32 v26, 0x100
	v_mov_b32_e32 v27, 0xffffff80
	;; [unrolled: 1-line block ×4, first 2 shown]
	s_mov_b32 s26, s24
	v_mov_b32_e32 v24, v1
.LBB5_3:                                ; =>This Inner Loop Header: Depth=1
	v_add_u32_e32 v6, s25, v22
	v_add_u32_e32 v2, s14, v22
	v_ashrrev_i32_e32 v25, 31, v24
	v_ashrrev_i32_e32 v7, 31, v6
	v_add_u32_e32 v4, s13, v24
	v_ashrrev_i32_e32 v3, 31, v2
	v_lshlrev_b64 v[30:31], 3, v[24:25]
	v_lshlrev_b64 v[24:25], 3, v[6:7]
	;; [unrolled: 1-line block ×3, first 2 shown]
	s_waitcnt lgkmcnt(0)
	v_lshl_add_u64 v[32:33], s[20:21], 0, v[24:25]
	v_lshl_add_u64 v[34:35], s[4:5], 0, v[14:15]
	;; [unrolled: 1-line block ×4, first 2 shown]
	global_load_dwordx2 v[44:45], v[32:33], off
	global_load_dwordx2 v[46:47], v[34:35], off
	;; [unrolled: 1-line block ×4, first 2 shown]
	v_lshl_add_u64 v[38:39], s[6:7], 0, v[24:25]
	v_lshl_add_u64 v[18:19], s[8:9], 0, v[14:15]
	;; [unrolled: 1-line block ×7, first 2 shown]
	v_ashrrev_i32_e32 v23, 31, v22
	v_ashrrev_i32_e32 v5, 31, v4
	v_lshlrev_b64 v[22:23], 3, v[22:23]
	v_lshl_add_u64 v[6:7], v[4:5], 3, s[16:17]
	v_lshl_add_u64 v[12:13], s[6:7], 0, v[22:23]
	;; [unrolled: 1-line block ×5, first 2 shown]
	s_add_i32 s26, s26, -1
	s_cmp_eq_u32 s26, 0
	s_waitcnt vmcnt(3)
	v_mul_f64 v[32:33], v[44:45], v[44:45]
	s_waitcnt vmcnt(2)
	v_fmac_f64_e32 v[32:33], v[46:47], v[46:47]
	v_cmp_gt_f64_e32 vcc, s[22:23], v[32:33]
	s_nop 1
	v_cndmask_b32_e32 v3, 0, v26, vcc
	v_ldexp_f64 v[32:33], v[32:33], v3
	v_rsq_f64_e32 v[52:53], v[32:33]
	v_cndmask_b32_e32 v3, 0, v27, vcc
	v_cmp_class_f64_e32 vcc, v[32:33], v28
	v_mul_f64 v[54:55], v[32:33], v[52:53]
	v_mul_f64 v[52:53], v[52:53], 0.5
	v_fma_f64 v[56:57], -v[52:53], v[54:55], 0.5
	v_fmac_f64_e32 v[54:55], v[54:55], v[56:57]
	v_fmac_f64_e32 v[52:53], v[52:53], v[56:57]
	v_fma_f64 v[56:57], -v[54:55], v[54:55], v[32:33]
	v_fmac_f64_e32 v[54:55], v[56:57], v[52:53]
	v_fma_f64 v[56:57], -v[54:55], v[54:55], v[32:33]
	v_fmac_f64_e32 v[54:55], v[56:57], v[52:53]
	v_ldexp_f64 v[52:53], v[54:55], v3
	v_cndmask_b32_e32 v33, v53, v33, vcc
	v_cndmask_b32_e32 v32, v52, v32, vcc
	v_div_scale_f64 v[52:53], s[0:1], v[32:33], v[32:33], v[46:47]
	v_rcp_f64_e32 v[58:59], v[52:53]
	v_div_scale_f64 v[54:55], vcc, v[46:47], v[32:33], v[46:47]
	v_div_scale_f64 v[56:57], s[0:1], v[32:33], v[32:33], v[44:45]
	v_fma_f64 v[60:61], -v[52:53], v[58:59], 1.0
	v_fmac_f64_e32 v[58:59], v[58:59], v[60:61]
	v_fma_f64 v[60:61], -v[52:53], v[58:59], 1.0
	v_fmac_f64_e32 v[58:59], v[58:59], v[60:61]
	v_mul_f64 v[60:61], v[54:55], v[58:59]
	v_fma_f64 v[52:53], -v[52:53], v[60:61], v[54:55]
	v_div_fmas_f64 v[52:53], v[52:53], v[58:59], v[60:61]
	v_rcp_f64_e32 v[58:59], v[56:57]
	v_div_scale_f64 v[54:55], s[0:1], v[44:45], v[32:33], v[44:45]
	s_mov_b64 vcc, s[0:1]
	v_fma_f64 v[60:61], -v[56:57], v[58:59], 1.0
	v_fmac_f64_e32 v[58:59], v[58:59], v[60:61]
	v_fma_f64 v[60:61], -v[56:57], v[58:59], 1.0
	v_fmac_f64_e32 v[58:59], v[58:59], v[60:61]
	v_mul_f64 v[60:61], v[54:55], v[58:59]
	v_fma_f64 v[54:55], -v[56:57], v[60:61], v[54:55]
	v_div_fmas_f64 v[54:55], v[54:55], v[58:59], v[60:61]
	v_div_fixup_f64 v[52:53], v[52:53], v[32:33], v[46:47]
	v_div_fixup_f64 v[32:33], v[54:55], v[32:33], v[44:45]
	v_mul_f64 v[44:45], v[44:45], v[32:33]
	v_fmac_f64_e32 v[44:45], v[46:47], v[52:53]
	global_load_dwordx2 v[56:57], v[38:39], off
	global_load_dwordx2 v[58:59], v[18:19], off
	;; [unrolled: 1-line block ×5, first 2 shown]
	s_nop 0
	global_store_dwordx2 v[34:35], v[44:45], off
	s_waitcnt vmcnt(7)
	v_mul_f64 v[34:35], v[48:49], v[52:53]
	s_waitcnt vmcnt(6)
	v_fma_f64 v[34:35], -v[50:51], v[32:33], v[34:35]
	global_store_dwordx2 v[36:37], v[34:35], off
	global_load_dwordx2 v[34:35], v[14:15], off
	s_nop 0
	global_load_dwordx2 v[36:37], v[42:43], off
	v_mul_f64 v[48:49], v[48:49], v[32:33]
	v_fmac_f64_e32 v[48:49], v[50:51], v[52:53]
	s_waitcnt vmcnt(8)
	v_mul_f64 v[50:51], v[56:57], v[52:53]
	v_mul_f64 v[56:57], v[56:57], v[32:33]
	s_waitcnt vmcnt(7)
	v_fma_f64 v[50:51], -v[58:59], v[32:33], v[50:51]
	v_fmac_f64_e32 v[56:57], v[58:59], v[52:53]
	s_waitcnt vmcnt(6)
	v_mul_f64 v[58:59], v[52:53], v[60:61]
	v_mul_f64 v[60:61], v[32:33], v[60:61]
	s_waitcnt vmcnt(5)
	v_fma_f64 v[58:59], -v[54:55], v[32:33], v[58:59]
	;; [unrolled: 6-line block ×3, first 2 shown]
	s_waitcnt vmcnt(0)
	v_mul_f64 v[32:33], v[32:33], v[36:37]
	v_fmac_f64_e32 v[46:47], v[34:35], v[52:53]
	v_lshl_add_u64 v[34:35], s[16:17], 0, v[30:31]
	v_mul_f64 v[22:23], v[52:53], v[36:37]
	global_store_dwordx2 v[6:7], v[32:33], off
	global_store_dwordx2 v[16:17], v[48:49], off
	;; [unrolled: 1-line block ×9, first 2 shown]
	global_load_dwordx2 v[36:37], v[34:35], off
	global_load_dwordx2 v[38:39], v[12:13], off
	;; [unrolled: 1-line block ×4, first 2 shown]
	v_mul_f64 v[22:23], v[44:45], v[44:45]
	global_load_dwordx2 v[58:59], v[62:63], off
	s_waitcnt vmcnt(3)
	v_fmac_f64_e32 v[22:23], v[38:39], v[38:39]
	v_cmp_gt_f64_e32 vcc, s[22:23], v[22:23]
	s_nop 1
	v_cndmask_b32_e32 v3, 0, v26, vcc
	v_ldexp_f64 v[22:23], v[22:23], v3
	v_rsq_f64_e32 v[24:25], v[22:23]
	v_cndmask_b32_e32 v3, 0, v27, vcc
	v_cmp_class_f64_e32 vcc, v[22:23], v28
	v_mul_f64 v[46:47], v[22:23], v[24:25]
	v_mul_f64 v[24:25], v[24:25], 0.5
	v_fma_f64 v[50:51], -v[24:25], v[46:47], 0.5
	v_fmac_f64_e32 v[46:47], v[46:47], v[50:51]
	v_fmac_f64_e32 v[24:25], v[24:25], v[50:51]
	v_fma_f64 v[50:51], -v[46:47], v[46:47], v[22:23]
	v_fmac_f64_e32 v[46:47], v[50:51], v[24:25]
	v_fma_f64 v[50:51], -v[46:47], v[46:47], v[22:23]
	v_fmac_f64_e32 v[46:47], v[50:51], v[24:25]
	v_ldexp_f64 v[24:25], v[46:47], v3
	v_cndmask_b32_e32 v47, v25, v23, vcc
	v_cndmask_b32_e32 v46, v24, v22, vcc
	v_div_scale_f64 v[22:23], s[0:1], v[46:47], v[46:47], v[38:39]
	v_rcp_f64_e32 v[52:53], v[22:23]
	v_div_scale_f64 v[24:25], vcc, v[38:39], v[46:47], v[38:39]
	v_div_scale_f64 v[50:51], s[0:1], v[46:47], v[46:47], v[44:45]
	v_fma_f64 v[54:55], -v[22:23], v[52:53], 1.0
	v_fmac_f64_e32 v[52:53], v[52:53], v[54:55]
	v_fma_f64 v[54:55], -v[22:23], v[52:53], 1.0
	v_fmac_f64_e32 v[52:53], v[52:53], v[54:55]
	v_mul_f64 v[54:55], v[24:25], v[52:53]
	v_fma_f64 v[22:23], -v[22:23], v[54:55], v[24:25]
	v_div_fmas_f64 v[52:53], v[22:23], v[52:53], v[54:55]
	v_rcp_f64_e32 v[22:23], v[50:51]
	v_div_scale_f64 v[24:25], s[0:1], v[44:45], v[46:47], v[44:45]
	s_mov_b64 vcc, s[0:1]
	v_fma_f64 v[54:55], -v[50:51], v[22:23], 1.0
	v_fmac_f64_e32 v[22:23], v[22:23], v[54:55]
	v_fma_f64 v[54:55], -v[50:51], v[22:23], 1.0
	v_fmac_f64_e32 v[22:23], v[22:23], v[54:55]
	v_mul_f64 v[54:55], v[24:25], v[22:23]
	v_fma_f64 v[24:25], -v[50:51], v[54:55], v[24:25]
	global_load_dwordx2 v[50:51], v[8:9], off
	v_div_fmas_f64 v[54:55], v[24:25], v[22:23], v[54:55]
	v_mov_b32_e32 v22, v2
	v_mov_b32_e32 v24, v4
	v_lshl_add_u64 v[2:3], s[18:19], 0, v[30:31]
	v_div_fixup_f64 v[4:5], v[52:53], v[46:47], v[38:39]
	v_div_fixup_f64 v[30:31], v[54:55], v[46:47], v[44:45]
	v_mul_f64 v[46:47], v[48:49], v[4:5]
	v_mul_f64 v[44:45], v[44:45], v[30:31]
	v_mul_f64 v[48:49], v[48:49], v[30:31]
	v_mul_f64 v[52:53], v[56:57], v[4:5]
	v_fmac_f64_e32 v[44:45], v[38:39], v[4:5]
	v_mul_f64 v[38:39], v[60:61], v[4:5]
	s_waitcnt vmcnt(3)
	v_fma_f64 v[46:47], -v[40:41], v[30:31], v[46:47]
	v_fmac_f64_e32 v[48:49], v[40:41], v[4:5]
	s_waitcnt vmcnt(2)
	v_mul_f64 v[40:41], v[4:5], v[42:43]
	v_mul_f64 v[54:55], v[56:57], v[30:31]
	v_fma_f64 v[38:39], -v[36:37], v[30:31], v[38:39]
	v_mul_f64 v[56:57], v[60:61], v[30:31]
	v_mul_f64 v[42:43], v[30:31], v[42:43]
	s_waitcnt vmcnt(1)
	v_fma_f64 v[40:41], -v[58:59], v[30:31], v[40:41]
	v_fmac_f64_e32 v[56:57], v[36:37], v[4:5]
	v_fmac_f64_e32 v[42:43], v[58:59], v[4:5]
	s_waitcnt vmcnt(0)
	v_fma_f64 v[52:53], -v[50:51], v[30:31], v[52:53]
	v_mul_f64 v[30:31], v[32:33], v[30:31]
	v_mul_f64 v[32:33], v[32:33], v[4:5]
	v_fmac_f64_e32 v[54:55], v[50:51], v[4:5]
	global_store_dwordx2 v[2:3], v[30:31], off
	global_store_dwordx2 v[12:13], v[44:45], off
	;; [unrolled: 1-line block ×11, first 2 shown]
	s_cbranch_scc0 .LBB5_3
.LBB5_4:
	s_add_i32 s0, s12, -1
	s_mul_i32 s20, s14, s0
	v_add_u32_e32 v2, s20, v1
	v_ashrrev_i32_e32 v3, 31, v2
	v_lshlrev_b64 v[2:3], 3, v[2:3]
	s_waitcnt lgkmcnt(0)
	v_lshl_add_u64 v[4:5], s[4:5], 0, v[2:3]
	s_sub_i32 s4, s20, s14
	v_add_u32_e32 v6, s4, v1
	v_ashrrev_i32_e32 v7, 31, v6
	v_lshlrev_b64 v[6:7], 3, v[6:7]
	global_load_dwordx2 v[4:5], v[4:5], off
	v_lshl_add_u64 v[8:9], s[6:7], 0, v[6:7]
	global_load_dwordx2 v[10:11], v[8:9], off
	v_lshl_add_u64 v[12:13], s[6:7], 0, v[2:3]
	v_lshl_add_u64 v[14:15], s[8:9], 0, v[2:3]
	;; [unrolled: 1-line block ×3, first 2 shown]
	global_load_dwordx2 v[18:19], v[12:13], off
	global_load_dwordx2 v[20:21], v[14:15], off
	global_load_dwordx2 v[22:23], v[16:17], off
	v_lshl_add_u64 v[24:25], s[8:9], 0, v[6:7]
	v_lshl_add_u64 v[28:29], s[10:11], 0, v[6:7]
	;; [unrolled: 1-line block ×3, first 2 shown]
	global_load_dwordx2 v[26:27], v[24:25], off
	global_load_dwordx2 v[32:33], v[6:7], off
	;; [unrolled: 1-line block ×3, first 2 shown]
	s_mul_i32 s5, s13, s24
	s_mov_b32 s0, 0
	s_brev_b32 s1, 8
	v_add_u32_e32 v34, s5, v1
	v_mov_b32_e32 v42, 0x100
	v_ashrrev_i32_e32 v35, 31, v34
	v_lshlrev_b64 v[36:37], 3, v[34:35]
	v_mov_b32_e32 v48, 0xffffff80
	v_mov_b32_e32 v52, 0x260
	v_lshl_add_u64 v[38:39], s[16:17], 0, v[36:37]
	v_lshl_add_u64 v[2:3], s[10:11], 0, v[2:3]
	global_load_dwordx2 v[44:45], v[38:39], off
	global_load_dwordx2 v[46:47], v[2:3], off
	s_sub_i32 s4, s4, s14
	s_waitcnt vmcnt(9)
	v_mul_f64 v[40:41], v[4:5], v[4:5]
	s_waitcnt vmcnt(8)
	v_fmac_f64_e32 v[40:41], v[10:11], v[10:11]
	v_cmp_gt_f64_e32 vcc, s[0:1], v[40:41]
	s_nop 1
	v_cndmask_b32_e32 v35, 0, v42, vcc
	v_ldexp_f64 v[40:41], v[40:41], v35
	v_rsq_f64_e32 v[42:43], v[40:41]
	v_cndmask_b32_e32 v35, 0, v48, vcc
	v_cmp_class_f64_e32 vcc, v[40:41], v52
	v_mul_f64 v[48:49], v[40:41], v[42:43]
	v_mul_f64 v[42:43], v[42:43], 0.5
	v_fma_f64 v[50:51], -v[42:43], v[48:49], 0.5
	v_fmac_f64_e32 v[48:49], v[48:49], v[50:51]
	v_fmac_f64_e32 v[42:43], v[42:43], v[50:51]
	v_fma_f64 v[50:51], -v[48:49], v[48:49], v[40:41]
	v_fmac_f64_e32 v[48:49], v[50:51], v[42:43]
	v_fma_f64 v[50:51], -v[48:49], v[48:49], v[40:41]
	v_fmac_f64_e32 v[48:49], v[50:51], v[42:43]
	v_ldexp_f64 v[42:43], v[48:49], v35
	v_cndmask_b32_e32 v41, v43, v41, vcc
	v_cndmask_b32_e32 v40, v42, v40, vcc
	v_div_scale_f64 v[42:43], s[0:1], v[40:41], v[40:41], v[10:11]
	v_div_scale_f64 v[50:51], s[0:1], v[40:41], v[40:41], v[4:5]
	v_rcp_f64_e32 v[52:53], v[42:43]
	v_rcp_f64_e32 v[54:55], v[50:51]
	v_div_scale_f64 v[48:49], vcc, v[10:11], v[40:41], v[10:11]
	v_fma_f64 v[58:59], -v[42:43], v[52:53], 1.0
	v_fmac_f64_e32 v[52:53], v[52:53], v[58:59]
	v_fma_f64 v[58:59], -v[50:51], v[54:55], 1.0
	v_fmac_f64_e32 v[54:55], v[54:55], v[58:59]
	;; [unrolled: 2-line block ×3, first 2 shown]
	v_fma_f64 v[58:59], -v[50:51], v[54:55], 1.0
	v_div_scale_f64 v[56:57], s[0:1], v[4:5], v[40:41], v[4:5]
	v_fmac_f64_e32 v[54:55], v[54:55], v[58:59]
	v_mul_f64 v[58:59], v[48:49], v[52:53]
	v_fma_f64 v[42:43], -v[42:43], v[58:59], v[48:49]
	v_mul_f64 v[48:49], v[56:57], v[54:55]
	v_fma_f64 v[50:51], -v[50:51], v[48:49], v[56:57]
	v_div_fmas_f64 v[42:43], v[42:43], v[52:53], v[58:59]
	s_mov_b64 vcc, s[0:1]
	v_div_fixup_f64 v[42:43], v[42:43], v[40:41], v[10:11]
	v_div_fmas_f64 v[48:49], v[50:51], v[54:55], v[48:49]
	v_div_fixup_f64 v[40:41], v[48:49], v[40:41], v[4:5]
	s_waitcnt vmcnt(7)
	v_mul_f64 v[48:49], v[18:19], v[42:43]
	s_waitcnt vmcnt(5)
	v_mul_f64 v[52:53], v[42:43], v[22:23]
	v_mul_f64 v[4:5], v[4:5], v[40:41]
	s_waitcnt vmcnt(4)
	v_fma_f64 v[48:49], -v[26:27], v[40:41], v[48:49]
	s_waitcnt vmcnt(3)
	v_fma_f64 v[52:53], -v[32:33], v[40:41], v[52:53]
	v_mul_f64 v[18:19], v[18:19], v[40:41]
	v_fmac_f64_e32 v[4:5], v[10:11], v[42:43]
	v_div_scale_f64 v[10:11], s[0:1], v[48:49], v[48:49], v[52:53]
	v_fmac_f64_e32 v[18:19], v[26:27], v[42:43]
	global_store_dwordx2 v[8:9], v[4:5], off
	global_store_dwordx2 v[24:25], v[18:19], off
	v_rcp_f64_e32 v[4:5], v[10:11]
	v_div_scale_f64 v[26:27], vcc, v[52:53], v[48:49], v[52:53]
	v_mul_f64 v[50:51], v[20:21], v[42:43]
	v_fma_f64 v[18:19], -v[10:11], v[4:5], 1.0
	v_fmac_f64_e32 v[4:5], v[4:5], v[18:19]
	v_fma_f64 v[18:19], -v[10:11], v[4:5], 1.0
	v_fmac_f64_e32 v[4:5], v[4:5], v[18:19]
	v_mul_f64 v[18:19], v[26:27], v[4:5]
	v_fma_f64 v[10:11], -v[10:11], v[18:19], v[26:27]
	v_div_fmas_f64 v[4:5], v[10:11], v[4:5], v[18:19]
	s_waitcnt vmcnt(4)
	v_fma_f64 v[50:51], -v[30:31], v[40:41], v[50:51]
	v_mul_f64 v[22:23], v[40:41], v[22:23]
	v_div_fixup_f64 v[4:5], v[4:5], v[48:49], v[52:53]
	v_fmac_f64_e32 v[22:23], v[32:33], v[42:43]
	global_store_dwordx2 v[14:15], v[50:51], off
	global_store_dwordx2 v[6:7], v[22:23], off
	;; [unrolled: 1-line block ×3, first 2 shown]
	global_load_dwordx2 v[14:15], v[24:25], off
	v_mul_f64 v[20:21], v[20:21], v[40:41]
	global_load_dwordx2 v[10:11], v[6:7], off
	v_fmac_f64_e32 v[20:21], v[30:31], v[42:43]
	global_store_dwordx2 v[12:13], v[48:49], off
	global_load_dwordx2 v[8:9], v[8:9], off
	v_add_u32_e32 v12, s13, v34
	v_ashrrev_i32_e32 v13, 31, v12
	v_lshl_add_u64 v[18:19], v[12:13], 3, s[16:17]
	s_waitcnt vmcnt(9)
	v_mul_f64 v[48:49], v[42:43], v[46:47]
	global_load_dwordx2 v[24:25], v[18:19], off
	v_fma_f64 v[48:49], -v[44:45], v[40:41], v[48:49]
	global_store_dwordx2 v[28:29], v[20:21], off
	global_store_dwordx2 v[2:3], v[48:49], off
	v_add_u32_e32 v22, s4, v1
	v_ashrrev_i32_e32 v23, 31, v22
	v_lshlrev_b64 v[22:23], 3, v[22:23]
	v_lshl_add_u64 v[32:33], s[8:9], 0, v[22:23]
	v_lshl_add_u64 v[26:27], s[2:3], 0, v[22:23]
	;; [unrolled: 1-line block ×3, first 2 shown]
	global_load_dwordx2 v[2:3], v[32:33], off
	global_load_dwordx2 v[20:21], v[34:35], off
	s_sub_i32 s4, s4, s14
	v_mad_u64_u32 v[12:13], s[0:1], s13, -3, v[12:13]
	v_mul_f64 v[46:47], v[40:41], v[46:47]
	v_ashrrev_i32_e32 v13, 31, v12
	v_fmac_f64_e32 v[46:47], v[44:45], v[42:43]
	v_lshl_add_u64 v[12:13], v[12:13], 3, s[16:17]
	s_cmp_lt_i32 s12, 5
	s_waitcnt vmcnt(7)
	v_fma_f64 v[4:5], -v[4:5], v[14:15], v[10:11]
	s_waitcnt vmcnt(5)
	v_div_scale_f64 v[10:11], s[0:1], v[8:9], v[8:9], v[4:5]
	v_rcp_f64_e32 v[14:15], v[10:11]
	v_div_scale_f64 v[28:29], vcc, v[4:5], v[8:9], v[4:5]
	s_waitcnt vmcnt(4)
	v_mul_f64 v[34:35], v[42:43], v[24:25]
	v_fma_f64 v[30:31], -v[10:11], v[14:15], 1.0
	v_fmac_f64_e32 v[14:15], v[14:15], v[30:31]
	v_fma_f64 v[30:31], -v[10:11], v[14:15], 1.0
	v_fmac_f64_e32 v[14:15], v[14:15], v[30:31]
	v_mul_f64 v[30:31], v[28:29], v[14:15]
	v_fma_f64 v[10:11], -v[10:11], v[30:31], v[28:29]
	v_div_fmas_f64 v[10:11], v[10:11], v[14:15], v[30:31]
	v_div_fixup_f64 v[4:5], v[10:11], v[8:9], v[4:5]
	global_store_dwordx2 v[6:7], v[4:5], off
	global_load_dwordx2 v[8:9], v[26:27], off
	global_load_dwordx2 v[10:11], v[16:17], off
	v_lshl_add_u64 v[14:15], s[6:7], 0, v[22:23]
	global_load_dwordx2 v[14:15], v[14:15], off
	v_add_u32_e32 v22, s4, v1
	v_ashrrev_i32_e32 v23, 31, v22
	v_lshlrev_b64 v[22:23], 3, v[22:23]
	v_lshl_add_u64 v[30:31], s[8:9], 0, v[22:23]
	global_store_dwordx2 v[38:39], v[46:47], off
	global_store_dwordx2 v[18:19], v[34:35], off
	v_lshl_add_u64 v[32:33], s[10:11], 0, v[22:23]
	global_load_dwordx2 v[18:19], v[30:31], off
	global_load_dwordx2 v[34:35], v[32:33], off
	v_lshl_add_u64 v[28:29], s[2:3], 0, v[22:23]
	s_waitcnt vmcnt(6)
	v_fma_f64 v[2:3], -v[4:5], v[2:3], v[8:9]
	s_waitcnt vmcnt(5)
	v_fma_f64 v[2:3], -v[20:21], v[10:11], v[2:3]
	global_load_dwordx2 v[10:11], v[12:13], off
	s_waitcnt vmcnt(5)
	v_div_scale_f64 v[4:5], s[0:1], v[14:15], v[14:15], v[2:3]
	v_rcp_f64_e32 v[8:9], v[4:5]
	v_div_scale_f64 v[12:13], vcc, v[2:3], v[14:15], v[2:3]
	v_fma_f64 v[20:21], -v[4:5], v[8:9], 1.0
	v_fmac_f64_e32 v[8:9], v[8:9], v[20:21]
	v_fma_f64 v[20:21], -v[4:5], v[8:9], 1.0
	v_fmac_f64_e32 v[8:9], v[8:9], v[20:21]
	v_mul_f64 v[20:21], v[12:13], v[8:9]
	v_fma_f64 v[4:5], -v[4:5], v[20:21], v[12:13]
	v_div_fmas_f64 v[4:5], v[4:5], v[8:9], v[20:21]
	v_div_fixup_f64 v[2:3], v[4:5], v[14:15], v[2:3]
	global_store_dwordx2 v[26:27], v[2:3], off
	global_load_dwordx2 v[4:5], v[28:29], off
	global_load_dwordx2 v[8:9], v[6:7], off
	;; [unrolled: 1-line block ×3, first 2 shown]
	v_lshl_add_u64 v[6:7], s[6:7], 0, v[22:23]
	global_load_dwordx2 v[6:7], v[6:7], off
	v_lshl_add_u64 v[14:15], s[18:19], 0, v[36:37]
	v_mul_f64 v[16:17], v[40:41], v[24:25]
	global_store_dwordx2 v[14:15], v[16:17], off
	s_waitcnt vmcnt(4)
	v_fma_f64 v[2:3], -v[2:3], v[18:19], v[4:5]
	s_waitcnt vmcnt(3)
	v_fma_f64 v[2:3], -v[34:35], v[8:9], v[2:3]
	;; [unrolled: 2-line block ×3, first 2 shown]
	s_waitcnt vmcnt(1)
	v_div_scale_f64 v[4:5], s[0:1], v[6:7], v[6:7], v[2:3]
	v_rcp_f64_e32 v[8:9], v[4:5]
	v_div_scale_f64 v[10:11], vcc, v[2:3], v[6:7], v[2:3]
	v_fma_f64 v[12:13], -v[4:5], v[8:9], 1.0
	v_fmac_f64_e32 v[8:9], v[8:9], v[12:13]
	v_fma_f64 v[12:13], -v[4:5], v[8:9], 1.0
	v_fmac_f64_e32 v[8:9], v[8:9], v[12:13]
	v_mul_f64 v[12:13], v[10:11], v[8:9]
	v_fma_f64 v[4:5], -v[4:5], v[12:13], v[10:11]
	v_div_fmas_f64 v[4:5], v[4:5], v[8:9], v[12:13]
	v_div_fixup_f64 v[2:3], v[4:5], v[6:7], v[2:3]
	global_store_dwordx2 v[28:29], v[2:3], off
	s_cbranch_scc1 .LBB5_7
; %bb.5:
	s_add_i32 s1, s12, -5
	s_add_i32 s0, s12, -4
	s_mul_i32 s4, s13, s1
	v_add_u32_e32 v1, s4, v0
	s_mul_i32 s4, s14, s0
	v_add_u32_e32 v2, s4, v0
	s_add_i32 s4, s12, -3
	s_mul_i32 s4, s14, s4
	v_add_u32_e32 v3, s4, v0
	s_mul_i32 s4, s14, s24
	s_mul_i32 s1, s14, s1
	v_add_u32_e32 v4, s4, v0
	v_add_u32_e32 v5, s20, v0
	;; [unrolled: 1-line block ×3, first 2 shown]
.LBB5_6:                                ; =>This Inner Loop Header: Depth=1
	v_add_u32_e32 v8, s15, v2
	v_add_u32_e32 v10, s15, v3
	v_ashrrev_i32_e32 v9, 31, v8
	v_add_u32_e32 v14, s15, v4
	v_ashrrev_i32_e32 v11, 31, v10
	v_lshl_add_u64 v[8:9], v[8:9], 3, s[2:3]
	v_add_u32_e32 v6, s15, v0
	v_add_u32_e32 v16, s15, v5
	v_ashrrev_i32_e32 v15, 31, v14
	v_lshl_add_u64 v[10:11], v[10:11], 3, s[2:3]
	global_load_dwordx2 v[8:9], v[8:9], off
	v_add_u32_e32 v12, s15, v1
	v_ashrrev_i32_e32 v7, 31, v6
	v_ashrrev_i32_e32 v17, 31, v16
	v_lshl_add_u64 v[14:15], v[14:15], 3, s[2:3]
	global_load_dwordx2 v[10:11], v[10:11], off
	v_ashrrev_i32_e32 v13, 31, v12
	v_lshlrev_b64 v[6:7], 3, v[6:7]
	v_lshl_add_u64 v[16:17], v[16:17], 3, s[2:3]
	global_load_dwordx2 v[14:15], v[14:15], off
	v_lshlrev_b64 v[12:13], 3, v[12:13]
	v_lshl_add_u64 v[18:19], s[2:3], 0, v[6:7]
	global_load_dwordx2 v[16:17], v[16:17], off
	v_lshl_add_u64 v[20:21], s[8:9], 0, v[6:7]
	v_lshl_add_u64 v[22:23], s[10:11], 0, v[6:7]
	;; [unrolled: 1-line block ×5, first 2 shown]
	global_load_dwordx2 v[26:27], v[18:19], off
	global_load_dwordx2 v[28:29], v[20:21], off
	;; [unrolled: 1-line block ×6, first 2 shown]
	s_add_i32 s0, s0, -1
	v_subrev_u32_e32 v1, s13, v1
	v_subrev_u32_e32 v2, s14, v2
	;; [unrolled: 1-line block ×6, first 2 shown]
	s_cmp_lg_u32 s0, 0
	s_waitcnt vmcnt(4)
	v_fma_f64 v[6:7], -v[28:29], v[8:9], v[26:27]
	s_waitcnt vmcnt(3)
	v_fma_f64 v[6:7], -v[30:31], v[10:11], v[6:7]
	s_waitcnt vmcnt(2)
	v_fma_f64 v[6:7], -v[32:33], v[14:15], v[6:7]
	s_waitcnt vmcnt(1)
	v_fma_f64 v[6:7], -v[34:35], v[16:17], v[6:7]
	s_waitcnt vmcnt(0)
	v_div_scale_f64 v[8:9], s[4:5], v[36:37], v[36:37], v[6:7]
	v_rcp_f64_e32 v[10:11], v[8:9]
	v_div_scale_f64 v[12:13], vcc, v[6:7], v[36:37], v[6:7]
	v_fma_f64 v[14:15], -v[8:9], v[10:11], 1.0
	v_fmac_f64_e32 v[10:11], v[10:11], v[14:15]
	v_fma_f64 v[14:15], -v[8:9], v[10:11], 1.0
	v_fmac_f64_e32 v[10:11], v[10:11], v[14:15]
	v_mul_f64 v[14:15], v[12:13], v[10:11]
	v_fma_f64 v[8:9], -v[8:9], v[14:15], v[12:13]
	v_div_fmas_f64 v[8:9], v[8:9], v[10:11], v[14:15]
	v_div_fixup_f64 v[6:7], v[8:9], v[36:37], v[6:7]
	global_store_dwordx2 v[18:19], v[6:7], off
	s_cbranch_scc1 .LBB5_6
.LBB5_7:
	s_endpgm
	.section	.rodata,"a",@progbits
	.p2align	6, 0x0
	.amdhsa_kernel _ZN9rocsparseL39gpsv_interleaved_batch_givens_qr_kernelILj128EdEEviiiPT0_S2_S2_S2_S2_S2_S2_S2_
		.amdhsa_group_segment_fixed_size 0
		.amdhsa_private_segment_fixed_size 0
		.amdhsa_kernarg_size 80
		.amdhsa_user_sgpr_count 2
		.amdhsa_user_sgpr_dispatch_ptr 0
		.amdhsa_user_sgpr_queue_ptr 0
		.amdhsa_user_sgpr_kernarg_segment_ptr 1
		.amdhsa_user_sgpr_dispatch_id 0
		.amdhsa_user_sgpr_kernarg_preload_length 0
		.amdhsa_user_sgpr_kernarg_preload_offset 0
		.amdhsa_user_sgpr_private_segment_size 0
		.amdhsa_uses_dynamic_stack 0
		.amdhsa_enable_private_segment 0
		.amdhsa_system_sgpr_workgroup_id_x 1
		.amdhsa_system_sgpr_workgroup_id_y 0
		.amdhsa_system_sgpr_workgroup_id_z 0
		.amdhsa_system_sgpr_workgroup_info 0
		.amdhsa_system_vgpr_workitem_id 0
		.amdhsa_next_free_vgpr 64
		.amdhsa_next_free_sgpr 27
		.amdhsa_accum_offset 64
		.amdhsa_reserve_vcc 1
		.amdhsa_float_round_mode_32 0
		.amdhsa_float_round_mode_16_64 0
		.amdhsa_float_denorm_mode_32 3
		.amdhsa_float_denorm_mode_16_64 3
		.amdhsa_dx10_clamp 1
		.amdhsa_ieee_mode 1
		.amdhsa_fp16_overflow 0
		.amdhsa_tg_split 0
		.amdhsa_exception_fp_ieee_invalid_op 0
		.amdhsa_exception_fp_denorm_src 0
		.amdhsa_exception_fp_ieee_div_zero 0
		.amdhsa_exception_fp_ieee_overflow 0
		.amdhsa_exception_fp_ieee_underflow 0
		.amdhsa_exception_fp_ieee_inexact 0
		.amdhsa_exception_int_div_zero 0
	.end_amdhsa_kernel
	.section	.text._ZN9rocsparseL39gpsv_interleaved_batch_givens_qr_kernelILj128EdEEviiiPT0_S2_S2_S2_S2_S2_S2_S2_,"axG",@progbits,_ZN9rocsparseL39gpsv_interleaved_batch_givens_qr_kernelILj128EdEEviiiPT0_S2_S2_S2_S2_S2_S2_S2_,comdat
.Lfunc_end5:
	.size	_ZN9rocsparseL39gpsv_interleaved_batch_givens_qr_kernelILj128EdEEviiiPT0_S2_S2_S2_S2_S2_S2_S2_, .Lfunc_end5-_ZN9rocsparseL39gpsv_interleaved_batch_givens_qr_kernelILj128EdEEviiiPT0_S2_S2_S2_S2_S2_S2_S2_
                                        ; -- End function
	.set _ZN9rocsparseL39gpsv_interleaved_batch_givens_qr_kernelILj128EdEEviiiPT0_S2_S2_S2_S2_S2_S2_S2_.num_vgpr, 64
	.set _ZN9rocsparseL39gpsv_interleaved_batch_givens_qr_kernelILj128EdEEviiiPT0_S2_S2_S2_S2_S2_S2_S2_.num_agpr, 0
	.set _ZN9rocsparseL39gpsv_interleaved_batch_givens_qr_kernelILj128EdEEviiiPT0_S2_S2_S2_S2_S2_S2_S2_.numbered_sgpr, 27
	.set _ZN9rocsparseL39gpsv_interleaved_batch_givens_qr_kernelILj128EdEEviiiPT0_S2_S2_S2_S2_S2_S2_S2_.num_named_barrier, 0
	.set _ZN9rocsparseL39gpsv_interleaved_batch_givens_qr_kernelILj128EdEEviiiPT0_S2_S2_S2_S2_S2_S2_S2_.private_seg_size, 0
	.set _ZN9rocsparseL39gpsv_interleaved_batch_givens_qr_kernelILj128EdEEviiiPT0_S2_S2_S2_S2_S2_S2_S2_.uses_vcc, 1
	.set _ZN9rocsparseL39gpsv_interleaved_batch_givens_qr_kernelILj128EdEEviiiPT0_S2_S2_S2_S2_S2_S2_S2_.uses_flat_scratch, 0
	.set _ZN9rocsparseL39gpsv_interleaved_batch_givens_qr_kernelILj128EdEEviiiPT0_S2_S2_S2_S2_S2_S2_S2_.has_dyn_sized_stack, 0
	.set _ZN9rocsparseL39gpsv_interleaved_batch_givens_qr_kernelILj128EdEEviiiPT0_S2_S2_S2_S2_S2_S2_S2_.has_recursion, 0
	.set _ZN9rocsparseL39gpsv_interleaved_batch_givens_qr_kernelILj128EdEEviiiPT0_S2_S2_S2_S2_S2_S2_S2_.has_indirect_call, 0
	.section	.AMDGPU.csdata,"",@progbits
; Kernel info:
; codeLenInByte = 3512
; TotalNumSgprs: 33
; NumVgprs: 64
; NumAgprs: 0
; TotalNumVgprs: 64
; ScratchSize: 0
; MemoryBound: 0
; FloatMode: 240
; IeeeMode: 1
; LDSByteSize: 0 bytes/workgroup (compile time only)
; SGPRBlocks: 4
; VGPRBlocks: 7
; NumSGPRsForWavesPerEU: 33
; NumVGPRsForWavesPerEU: 64
; AccumOffset: 64
; Occupancy: 8
; WaveLimiterHint : 0
; COMPUTE_PGM_RSRC2:SCRATCH_EN: 0
; COMPUTE_PGM_RSRC2:USER_SGPR: 2
; COMPUTE_PGM_RSRC2:TRAP_HANDLER: 0
; COMPUTE_PGM_RSRC2:TGID_X_EN: 1
; COMPUTE_PGM_RSRC2:TGID_Y_EN: 0
; COMPUTE_PGM_RSRC2:TGID_Z_EN: 0
; COMPUTE_PGM_RSRC2:TIDIG_COMP_CNT: 0
; COMPUTE_PGM_RSRC3_GFX90A:ACCUM_OFFSET: 15
; COMPUTE_PGM_RSRC3_GFX90A:TG_SPLIT: 0
	.section	.text._ZN9rocsparseL19gpsv_strided_gatherILj256E21rocsparse_complex_numIfEEEviiiPKT0_PS3_,"axG",@progbits,_ZN9rocsparseL19gpsv_strided_gatherILj256E21rocsparse_complex_numIfEEEviiiPKT0_PS3_,comdat
	.globl	_ZN9rocsparseL19gpsv_strided_gatherILj256E21rocsparse_complex_numIfEEEviiiPKT0_PS3_ ; -- Begin function _ZN9rocsparseL19gpsv_strided_gatherILj256E21rocsparse_complex_numIfEEEviiiPKT0_PS3_
	.p2align	8
	.type	_ZN9rocsparseL19gpsv_strided_gatherILj256E21rocsparse_complex_numIfEEEviiiPKT0_PS3_,@function
_ZN9rocsparseL19gpsv_strided_gatherILj256E21rocsparse_complex_numIfEEEviiiPKT0_PS3_: ; @_ZN9rocsparseL19gpsv_strided_gatherILj256E21rocsparse_complex_numIfEEEviiiPKT0_PS3_
; %bb.0:
	s_load_dword s3, s[0:1], 0x2c
	s_load_dwordx4 s[4:7], s[0:1], 0x0
	s_waitcnt lgkmcnt(0)
	s_and_b32 s3, s3, 0xffff
	s_mul_i32 s2, s2, s3
	s_cmp_gt_i32 s4, 0
	v_add_u32_e32 v0, s2, v0
	v_cmp_gt_i32_e32 vcc, s5, v0
	s_cselect_b64 s[2:3], -1, 0
	s_and_b64 s[2:3], vcc, s[2:3]
	s_and_saveexec_b64 s[8:9], s[2:3]
	s_cbranch_execz .LBB6_3
; %bb.1:
	s_load_dwordx4 s[0:3], s[0:1], 0x10
	v_mov_b32_e32 v2, v0
.LBB6_2:                                ; =>This Inner Loop Header: Depth=1
	v_ashrrev_i32_e32 v1, 31, v0
	s_waitcnt lgkmcnt(0)
	v_lshl_add_u64 v[4:5], v[0:1], 3, s[0:1]
	global_load_dwordx2 v[4:5], v[4:5], off
	v_ashrrev_i32_e32 v3, 31, v2
	s_add_i32 s4, s4, -1
	v_lshl_add_u64 v[6:7], v[2:3], 3, s[2:3]
	v_add_u32_e32 v2, s5, v2
	s_cmp_lg_u32 s4, 0
	v_add_u32_e32 v0, s6, v0
	s_waitcnt vmcnt(0)
	global_store_dwordx2 v[6:7], v[4:5], off
	s_cbranch_scc1 .LBB6_2
.LBB6_3:
	s_endpgm
	.section	.rodata,"a",@progbits
	.p2align	6, 0x0
	.amdhsa_kernel _ZN9rocsparseL19gpsv_strided_gatherILj256E21rocsparse_complex_numIfEEEviiiPKT0_PS3_
		.amdhsa_group_segment_fixed_size 0
		.amdhsa_private_segment_fixed_size 0
		.amdhsa_kernarg_size 288
		.amdhsa_user_sgpr_count 2
		.amdhsa_user_sgpr_dispatch_ptr 0
		.amdhsa_user_sgpr_queue_ptr 0
		.amdhsa_user_sgpr_kernarg_segment_ptr 1
		.amdhsa_user_sgpr_dispatch_id 0
		.amdhsa_user_sgpr_kernarg_preload_length 0
		.amdhsa_user_sgpr_kernarg_preload_offset 0
		.amdhsa_user_sgpr_private_segment_size 0
		.amdhsa_uses_dynamic_stack 0
		.amdhsa_enable_private_segment 0
		.amdhsa_system_sgpr_workgroup_id_x 1
		.amdhsa_system_sgpr_workgroup_id_y 0
		.amdhsa_system_sgpr_workgroup_id_z 0
		.amdhsa_system_sgpr_workgroup_info 0
		.amdhsa_system_vgpr_workitem_id 0
		.amdhsa_next_free_vgpr 8
		.amdhsa_next_free_sgpr 10
		.amdhsa_accum_offset 8
		.amdhsa_reserve_vcc 1
		.amdhsa_float_round_mode_32 0
		.amdhsa_float_round_mode_16_64 0
		.amdhsa_float_denorm_mode_32 3
		.amdhsa_float_denorm_mode_16_64 3
		.amdhsa_dx10_clamp 1
		.amdhsa_ieee_mode 1
		.amdhsa_fp16_overflow 0
		.amdhsa_tg_split 0
		.amdhsa_exception_fp_ieee_invalid_op 0
		.amdhsa_exception_fp_denorm_src 0
		.amdhsa_exception_fp_ieee_div_zero 0
		.amdhsa_exception_fp_ieee_overflow 0
		.amdhsa_exception_fp_ieee_underflow 0
		.amdhsa_exception_fp_ieee_inexact 0
		.amdhsa_exception_int_div_zero 0
	.end_amdhsa_kernel
	.section	.text._ZN9rocsparseL19gpsv_strided_gatherILj256E21rocsparse_complex_numIfEEEviiiPKT0_PS3_,"axG",@progbits,_ZN9rocsparseL19gpsv_strided_gatherILj256E21rocsparse_complex_numIfEEEviiiPKT0_PS3_,comdat
.Lfunc_end6:
	.size	_ZN9rocsparseL19gpsv_strided_gatherILj256E21rocsparse_complex_numIfEEEviiiPKT0_PS3_, .Lfunc_end6-_ZN9rocsparseL19gpsv_strided_gatherILj256E21rocsparse_complex_numIfEEEviiiPKT0_PS3_
                                        ; -- End function
	.set _ZN9rocsparseL19gpsv_strided_gatherILj256E21rocsparse_complex_numIfEEEviiiPKT0_PS3_.num_vgpr, 8
	.set _ZN9rocsparseL19gpsv_strided_gatherILj256E21rocsparse_complex_numIfEEEviiiPKT0_PS3_.num_agpr, 0
	.set _ZN9rocsparseL19gpsv_strided_gatherILj256E21rocsparse_complex_numIfEEEviiiPKT0_PS3_.numbered_sgpr, 10
	.set _ZN9rocsparseL19gpsv_strided_gatherILj256E21rocsparse_complex_numIfEEEviiiPKT0_PS3_.num_named_barrier, 0
	.set _ZN9rocsparseL19gpsv_strided_gatherILj256E21rocsparse_complex_numIfEEEviiiPKT0_PS3_.private_seg_size, 0
	.set _ZN9rocsparseL19gpsv_strided_gatherILj256E21rocsparse_complex_numIfEEEviiiPKT0_PS3_.uses_vcc, 1
	.set _ZN9rocsparseL19gpsv_strided_gatherILj256E21rocsparse_complex_numIfEEEviiiPKT0_PS3_.uses_flat_scratch, 0
	.set _ZN9rocsparseL19gpsv_strided_gatherILj256E21rocsparse_complex_numIfEEEviiiPKT0_PS3_.has_dyn_sized_stack, 0
	.set _ZN9rocsparseL19gpsv_strided_gatherILj256E21rocsparse_complex_numIfEEEviiiPKT0_PS3_.has_recursion, 0
	.set _ZN9rocsparseL19gpsv_strided_gatherILj256E21rocsparse_complex_numIfEEEviiiPKT0_PS3_.has_indirect_call, 0
	.section	.AMDGPU.csdata,"",@progbits
; Kernel info:
; codeLenInByte = 144
; TotalNumSgprs: 16
; NumVgprs: 8
; NumAgprs: 0
; TotalNumVgprs: 8
; ScratchSize: 0
; MemoryBound: 0
; FloatMode: 240
; IeeeMode: 1
; LDSByteSize: 0 bytes/workgroup (compile time only)
; SGPRBlocks: 1
; VGPRBlocks: 0
; NumSGPRsForWavesPerEU: 16
; NumVGPRsForWavesPerEU: 8
; AccumOffset: 8
; Occupancy: 8
; WaveLimiterHint : 0
; COMPUTE_PGM_RSRC2:SCRATCH_EN: 0
; COMPUTE_PGM_RSRC2:USER_SGPR: 2
; COMPUTE_PGM_RSRC2:TRAP_HANDLER: 0
; COMPUTE_PGM_RSRC2:TGID_X_EN: 1
; COMPUTE_PGM_RSRC2:TGID_Y_EN: 0
; COMPUTE_PGM_RSRC2:TGID_Z_EN: 0
; COMPUTE_PGM_RSRC2:TIDIG_COMP_CNT: 0
; COMPUTE_PGM_RSRC3_GFX90A:ACCUM_OFFSET: 1
; COMPUTE_PGM_RSRC3_GFX90A:TG_SPLIT: 0
	.section	.text._ZN9rocsparseL44gpsv_interleaved_batch_householder_qr_kernelILj256E21rocsparse_complex_numIfEEEviiiPT0_S4_S4_S4_S4_S4_S4_S4_S4_,"axG",@progbits,_ZN9rocsparseL44gpsv_interleaved_batch_householder_qr_kernelILj256E21rocsparse_complex_numIfEEEviiiPT0_S4_S4_S4_S4_S4_S4_S4_S4_,comdat
	.globl	_ZN9rocsparseL44gpsv_interleaved_batch_householder_qr_kernelILj256E21rocsparse_complex_numIfEEEviiiPT0_S4_S4_S4_S4_S4_S4_S4_S4_ ; -- Begin function _ZN9rocsparseL44gpsv_interleaved_batch_householder_qr_kernelILj256E21rocsparse_complex_numIfEEEviiiPT0_S4_S4_S4_S4_S4_S4_S4_S4_
	.p2align	8
	.type	_ZN9rocsparseL44gpsv_interleaved_batch_householder_qr_kernelILj256E21rocsparse_complex_numIfEEEviiiPT0_S4_S4_S4_S4_S4_S4_S4_S4_,@function
_ZN9rocsparseL44gpsv_interleaved_batch_householder_qr_kernelILj256E21rocsparse_complex_numIfEEEviiiPT0_S4_S4_S4_S4_S4_S4_S4_S4_: ; @_ZN9rocsparseL44gpsv_interleaved_batch_householder_qr_kernelILj256E21rocsparse_complex_numIfEEEviiiPT0_S4_S4_S4_S4_S4_S4_S4_S4_
; %bb.0:
	s_load_dword s3, s[0:1], 0x64
	s_load_dwordx4 s[4:7], s[0:1], 0x0
	s_waitcnt lgkmcnt(0)
	s_and_b32 s3, s3, 0xffff
	s_mul_i32 s7, s2, s3
	v_add_u32_e32 v1, s7, v0
	v_cmp_gt_i32_e32 vcc, s5, v1
	s_and_saveexec_b64 s[2:3], vcc
	s_cbranch_execz .LBB7_36
; %bb.1:
	s_load_dwordx2 s[16:17], s[0:1], 0x50
	s_load_dwordx4 s[8:11], s[0:1], 0x40
	s_load_dwordx4 s[12:15], s[0:1], 0x20
	s_load_dwordx2 s[18:19], s[0:1], 0x30
	s_cmp_lt_i32 s4, 2
	s_cbranch_scc1 .LBB7_23
; %bb.2:
	s_load_dwordx2 s[20:21], s[0:1], 0x18
	s_add_i32 s30, s4, -2
	s_cmp_eq_u32 s30, 0
	s_mov_b32 s22, 0
	s_cbranch_scc1 .LBB7_14
; %bb.3:
	s_load_dwordx2 s[22:23], s[0:1], 0x10
	v_add_u32_e32 v66, s5, v0
	v_lshl_add_u32 v67, s5, 1, v0
	v_lshl_add_u32 v68, s6, 1, v0
	v_add_u32_e32 v69, s6, v0
	s_mov_b32 s31, 0
	s_mov_b32 s33, 0xf800000
	v_mov_b32_e32 v70, 0x260
	v_mov_b32_e32 v71, v0
	;; [unrolled: 1-line block ×3, first 2 shown]
	s_branch .LBB7_6
.LBB7_4:                                ;   in Loop: Header=BB7_6 Depth=1
	s_or_b64 exec, exec, s[26:27]
	v_add_f32_e32 v58, v56, v60
	v_mul_f32_e32 v58, 0.5, v58
	v_mul_f32_e32 v59, 0x4f800000, v58
	v_cmp_gt_f32_e32 vcc, s33, v58
	v_sub_f32_e32 v56, v60, v56
	v_mul_f32_e32 v56, 0.5, v56
	v_cndmask_b32_e32 v58, v58, v59, vcc
	v_sqrt_f32_e32 v59, v58
	v_mul_f32_e32 v60, 0x4f800000, v56
	v_lshl_add_u64 v[40:41], v[40:41], 3, s[8:9]
	v_add_u32_e32 v61, -1, v59
	v_add_u32_e32 v73, 1, v59
	v_fma_f32 v74, -v61, v59, v58
	v_fma_f32 v75, -v73, v59, v58
	v_cmp_ge_f32_e64 s[2:3], 0, v74
	s_nop 1
	v_cndmask_b32_e64 v59, v59, v61, s[2:3]
	v_cmp_lt_f32_e64 s[2:3], 0, v75
	v_mov_b32_e32 v75, v49
	s_nop 0
	v_cndmask_b32_e64 v59, v59, v73, s[2:3]
	v_cmp_gt_f32_e64 s[2:3], s33, v56
	v_mul_f32_e32 v61, 0x37800000, v59
	v_cndmask_b32_e32 v59, v59, v61, vcc
	v_cndmask_b32_e64 v56, v56, v60, s[2:3]
	v_sqrt_f32_e32 v60, v56
	v_cmp_class_f32_e32 vcc, v58, v70
	s_nop 1
	v_cndmask_b32_e32 v58, v59, v58, vcc
	v_add_u32_e32 v59, -1, v60
	v_fma_f32 v61, -v59, v60, v56
	v_cmp_ge_f32_e32 vcc, 0, v61
	v_add_u32_e32 v61, 1, v60
	s_nop 0
	v_cndmask_b32_e32 v59, v60, v59, vcc
	v_fma_f32 v60, -v61, v60, v56
	v_cmp_lt_f32_e32 vcc, 0, v60
	s_nop 1
	v_cndmask_b32_e32 v59, v59, v61, vcc
	v_mul_f32_e32 v60, 0x37800000, v59
	v_cndmask_b32_e64 v59, v59, v60, s[2:3]
	v_cmp_class_f32_e32 vcc, v56, v70
	s_nop 1
	v_cndmask_b32_e32 v56, v59, v56, vcc
	v_cmp_gt_f32_e32 vcc, 0, v57
	s_nop 1
	v_cndmask_b32_e64 v57, v56, -v56, vcc
	v_cmp_lt_f32_e32 vcc, 0, v64
	s_nop 1
	v_cndmask_b32_e64 v57, -v57, v57, vcc
	v_cndmask_b32_e64 v56, -v58, v58, vcc
	v_add_f32_e32 v58, v65, v57
	v_add_f32_e32 v56, v64, v56
	v_mul_f32_e32 v59, v58, v58
	v_fmac_f32_e32 v59, v56, v56
	v_div_scale_f32 v57, s[2:3], v59, v59, 1.0
	v_rcp_f32_e32 v60, v57
	v_mul_f32_e32 v76, v56, v58
	v_fmac_f32_e32 v76, v58, v56
	v_fma_f32 v61, -v57, v60, 1.0
	v_fmac_f32_e32 v60, v61, v60
	v_div_scale_f32 v61, vcc, 1.0, v59, 1.0
	v_mul_f32_e32 v73, v61, v60
	v_fma_f32 v74, -v57, v73, v61
	v_fmac_f32_e32 v73, v74, v60
	v_fma_f32 v57, -v57, v73, v61
	v_div_fmas_f32 v73, v57, v60, v73
	v_xor_b32_e32 v61, 0x80000000, v48
	v_mov_b32_e32 v60, v49
	v_pk_mul_f32 v[60:61], v[60:61], v[58:59] op_sel_hi:[1,0]
	v_mov_b32_e32 v74, v49
	v_pk_fma_f32 v[60:61], v[48:49], v[56:57], v[60:61] op_sel_hi:[1,0,1]
	v_xor_b32_e32 v49, 0x80000000, v44
	v_mov_b32_e32 v48, v45
	v_pk_mul_f32 v[48:49], v[58:59], v[48:49] op_sel_hi:[0,1]
	v_mul_f32_e64 v58, v58, -v58
	v_fmac_f32_e32 v58, v56, v56
	v_pk_fma_f32 v[48:49], v[44:45], v[56:57], v[48:49] op_sel_hi:[1,0,1]
	v_add_f32_e32 v44, v55, v76
	v_mov_b32_e32 v56, v45
	v_mov_b32_e32 v57, v45
	v_add_f32_e32 v45, v54, v58
	v_mul_f32_e32 v54, v44, v44
	v_fmac_f32_e32 v54, v45, v45
	v_div_scale_f32 v55, s[2:3], v54, v54, 1.0
	v_rcp_f32_e32 v77, v55
	s_nop 0
	v_fma_f32 v78, -v55, v77, 1.0
	v_fmac_f32_e32 v77, v78, v77
	v_div_scale_f32 v78, vcc, 1.0, v54, 1.0
	v_mul_f32_e32 v79, v78, v77
	v_fma_f32 v80, -v55, v79, v78
	v_fmac_f32_e32 v79, v80, v77
	v_fma_f32 v55, -v55, v79, v78
	v_div_fmas_f32 v55, v55, v77, v79
	v_mul_f32_e32 v77, 0x80000000, v76
	v_add_f32_e32 v76, v76, v76
	v_fmac_f32_e32 v76, 0, v58
	v_fmac_f32_e32 v77, 2.0, v58
	v_mul_f32_e32 v79, v44, v76
	v_fmac_f32_e32 v79, v77, v45
	v_mul_f32_e64 v77, v44, -v77
	v_div_fixup_f32 v44, v73, v59, 1.0
	v_pk_mul_f32 v[48:49], v[48:49], v[44:45] op_sel_hi:[1,0]
	v_fmac_f32_e32 v77, v76, v45
	v_pk_mul_f32 v[44:45], v[60:61], v[44:45] op_sel_hi:[1,0]
	v_pk_add_f32 v[60:61], v[48:49], 0 neg_lo:[1,1] neg_hi:[1,1]
	v_pk_fma_f32 v[50:51], v[48:49], v[50:51], v[64:65]
	v_pk_mov_b32 v[58:59], v[60:61], v[48:49] op_sel:[1,0]
	v_div_fixup_f32 v78, v55, v54, 1.0
	v_pk_fma_f32 v[54:55], v[58:59], v[56:57], v[50:51]
	v_pk_add_f32 v[50:51], v[44:45], 0 neg_lo:[1,1] neg_hi:[1,1]
	v_pk_fma_f32 v[52:53], v[44:45], v[52:53], v[54:55]
	v_pk_mov_b32 v[56:57], v[50:51], v[44:45] op_sel:[1,0]
	v_mul_f32_e32 v54, v77, v78
	v_pk_fma_f32 v[74:75], v[56:57], v[74:75], v[52:53]
	v_mul_f32_e32 v52, v78, v79
	v_xor_b32_e32 v76, 0x80000000, v75
	v_mov_b32_e32 v77, v74
	v_pk_mul_f32 v[76:77], v[54:55], v[76:77] op_sel_hi:[0,1]
	v_fma_f32 v55, v49, v48, 0
	v_pk_fma_f32 v[74:75], v[74:75], v[52:53], v[76:77] op_sel_hi:[1,0,1]
	v_fma_f32 v53, v48, v48, 1.0
	v_fmac_f32_e32 v55, v48, v49
	v_fmac_f32_e32 v55, v45, v44
	v_fma_f32 v53, -v49, v49, v53
	v_fmac_f32_e32 v55, v44, v45
	v_fmac_f32_e32 v53, v44, v44
	v_mul_f32_e32 v73, v55, v55
	v_fma_f32 v53, -v45, v45, v53
	v_pk_add_f32 v[64:65], v[64:65], v[74:75] neg_lo:[0,1] neg_hi:[0,1]
	v_fmac_f32_e32 v73, v53, v53
	global_store_dwordx2 v[62:63], v[64:65], off
	v_div_scale_f32 v62, s[2:3], v73, v73, 1.0
	v_rcp_f32_e32 v63, v62
	v_mul_f32_e32 v80, -2.0, v55
	v_fmac_f32_e32 v80, 0, v53
	v_mul_f32_e32 v55, 0, v55
	v_fma_f32 v64, -v62, v63, 1.0
	v_fmac_f32_e32 v63, v64, v63
	v_div_scale_f32 v64, vcc, 1.0, v73, 1.0
	v_mul_f32_e32 v65, v64, v63
	v_fma_f32 v74, -v62, v65, v64
	v_fmac_f32_e32 v65, v74, v63
	v_fma_f32 v62, -v62, v65, v64
	v_div_fmas_f32 v74, v62, v63, v65
	v_add_u32_e32 v62, s7, v72
	v_ashrrev_i32_e32 v63, 31, v62
	v_lshlrev_b64 v[64:65], 3, v[62:63]
	v_div_fixup_f32 v73, v74, v73, 1.0
	v_lshl_add_u64 v[74:75], s[16:17], 0, v[64:65]
	global_load_dwordx2 v[76:77], v[74:75], off
	v_mul_f32_e32 v80, v80, v73
	v_fmac_f32_e32 v55, 2.0, v53
	global_store_dwordx2 v[32:33], v[48:49], off
	global_store_dwordx2 v[2:3], v[44:45], off
	s_waitcnt vmcnt(2)
	v_pk_fma_f32 v[62:63], v[48:49], v[42:43], v[76:77] op_sel_hi:[1,0,1]
	s_nop 0
	v_pk_fma_f32 v[62:63], v[58:59], v[42:43], v[62:63] op_sel:[0,1,0]
	s_nop 0
	v_pk_fma_f32 v[62:63], v[44:45], v[18:19], v[62:63] op_sel_hi:[1,0,1]
	s_nop 0
	v_pk_fma_f32 v[62:63], v[56:57], v[18:19], v[62:63] op_sel:[0,1,0]
	s_nop 0
	v_xor_b32_e32 v78, 0x80000000, v63
	v_mov_b32_e32 v79, v62
	v_pk_mul_f32 v[78:79], v[80:81], v[78:79] op_sel_hi:[0,1]
	v_mul_f32_e32 v80, v55, v73
	v_pk_fma_f32 v[62:63], v[62:63], v[80:81], v[78:79] op_sel_hi:[1,0,1]
	s_nop 0
	v_pk_add_f32 v[76:77], v[76:77], v[62:63] neg_lo:[0,1] neg_hi:[0,1]
	global_store_dwordx2 v[74:75], v[76:77], off
	v_lshlrev_b64 v[74:75], 3, v[46:47]
	v_lshl_add_u64 v[76:77], s[14:15], 0, v[74:75]
	global_load_dwordx2 v[78:79], v[76:77], off
	s_waitcnt vmcnt(0)
	v_pk_fma_f32 v[46:47], v[48:49], v[38:39], v[78:79] op_sel_hi:[1,0,1]
	s_nop 0
	v_pk_fma_f32 v[46:47], v[58:59], v[38:39], v[46:47] op_sel:[0,1,0]
	s_nop 0
	v_pk_fma_f32 v[46:47], v[44:45], v[26:27], v[46:47] op_sel_hi:[1,0,1]
	s_nop 0
	v_pk_fma_f32 v[46:47], v[56:57], v[26:27], v[46:47] op_sel:[0,1,0]
	s_nop 0
	v_xor_b32_e32 v80, 0x80000000, v47
	v_mov_b32_e32 v81, v46
	v_pk_mul_f32 v[80:81], v[54:55], v[80:81] op_sel_hi:[0,1]
	v_pk_fma_f32 v[46:47], v[46:47], v[52:53], v[80:81] op_sel_hi:[1,0,1]
	s_nop 0
	v_pk_add_f32 v[78:79], v[78:79], v[46:47] neg_lo:[0,1] neg_hi:[0,1]
	global_store_dwordx2 v[76:77], v[78:79], off
	v_lshl_add_u64 v[76:77], s[8:9], 0, v[64:65]
	global_load_dwordx2 v[78:79], v[76:77], off
	v_pk_fma_f32 v[38:39], v[46:47], v[48:49], v[38:39] op_sel_hi:[1,0,1] neg_lo:[1,0,0] neg_hi:[1,0,0]
	v_pk_fma_f32 v[26:27], v[46:47], v[44:45], v[26:27] op_sel_hi:[1,0,1] neg_lo:[1,0,0] neg_hi:[1,0,0]
	s_waitcnt vmcnt(0)
	v_pk_fma_f32 v[80:81], v[48:49], v[6:7], v[78:79] op_sel_hi:[1,0,1]
	s_nop 0
	v_pk_fma_f32 v[80:81], v[58:59], v[6:7], v[80:81] op_sel:[0,1,0]
	s_nop 0
	v_pk_fma_f32 v[80:81], v[44:45], v[24:25], v[80:81] op_sel_hi:[1,0,1]
	s_nop 0
	v_pk_fma_f32 v[80:81], v[56:57], v[24:25], v[80:81] op_sel:[0,1,0]
	s_nop 0
	v_xor_b32_e32 v82, 0x80000000, v81
	v_mov_b32_e32 v83, v80
	v_pk_mul_f32 v[82:83], v[54:55], v[82:83] op_sel_hi:[0,1]
	v_pk_fma_f32 v[80:81], v[80:81], v[52:53], v[82:83] op_sel_hi:[1,0,1]
	global_load_dwordx2 v[82:83], v[40:41], off
	v_pk_add_f32 v[78:79], v[78:79], v[80:81] neg_lo:[0,1] neg_hi:[0,1]
	global_store_dwordx2 v[76:77], v[78:79], off
	v_pk_add_f32 v[76:77], v[46:47], 0 neg_lo:[1,1] neg_hi:[1,1]
	global_load_dwordx2 v[32:33], v[40:41], off
	v_pk_mov_b32 v[76:77], v[46:47], v[76:77] op_sel:[1,0]
	v_pk_fma_f32 v[6:7], v[80:81], v[48:49], v[6:7] op_sel_hi:[1,0,1] neg_lo:[1,0,0] neg_hi:[1,0,0]
	v_pk_fma_f32 v[38:39], v[76:77], v[48:49], v[38:39] op_sel:[0,1,0]
	global_store_dwordx2 v[36:37], v[38:39], off
	v_pk_fma_f32 v[36:37], v[48:49], v[62:63], v[42:43] op_sel_hi:[1,0,1] neg_lo:[1,0,0] neg_hi:[1,0,0]
	v_pk_mov_b32 v[38:39], v[48:49], v[60:61] op_sel:[1,0]
	v_pk_fma_f32 v[26:27], v[76:77], v[44:45], v[26:27] op_sel:[0,1,0]
	v_pk_fma_f32 v[36:37], v[38:39], v[62:63], v[36:37] op_sel:[0,1,0]
	v_lshl_add_u64 v[38:39], s[10:11], 0, v[64:65]
	global_store_dwordx2 v[34:35], v[36:37], off
	v_lshl_add_u64 v[36:37], s[18:19], 0, v[74:75]
	global_load_dwordx2 v[34:35], v[38:39], off
	global_load_dwordx2 v[42:43], v[36:37], off
	s_waitcnt vmcnt(1)
	v_pk_fma_f32 v[2:3], v[48:49], v[82:83], v[34:35] op_sel_hi:[1,0,1]
	s_waitcnt vmcnt(0)
	v_pk_fma_f32 v[60:61], v[48:49], v[10:11], v[42:43] op_sel_hi:[1,0,1]
	v_pk_fma_f32 v[2:3], v[58:59], v[82:83], v[2:3] op_sel:[0,1,0]
	v_pk_fma_f32 v[58:59], v[58:59], v[10:11], v[60:61] op_sel:[0,1,0]
	global_store_dwordx2 v[22:23], v[26:27], off
	v_pk_fma_f32 v[58:59], v[44:45], v[30:31], v[58:59] op_sel_hi:[1,0,1]
	v_pk_fma_f32 v[2:3], v[44:45], v[16:17], v[2:3] op_sel_hi:[1,0,1]
	v_pk_fma_f32 v[22:23], v[56:57], v[30:31], v[58:59] op_sel:[0,1,0]
	v_pk_fma_f32 v[2:3], v[56:57], v[16:17], v[2:3] op_sel:[0,1,0]
	v_xor_b32_e32 v26, 0x80000000, v23
	v_mov_b32_e32 v27, v22
	v_pk_mul_f32 v[26:27], v[54:55], v[26:27] op_sel_hi:[0,1]
	v_pk_fma_f32 v[22:23], v[22:23], v[52:53], v[26:27] op_sel_hi:[1,0,1]
	s_nop 0
	v_pk_add_f32 v[26:27], v[42:43], v[22:23] neg_lo:[0,1] neg_hi:[0,1]
	global_store_dwordx2 v[36:37], v[26:27], off
	v_pk_add_f32 v[26:27], v[22:23], 0 neg_lo:[1,1] neg_hi:[1,1]
	v_pk_fma_f32 v[10:11], v[22:23], v[48:49], v[10:11] op_sel_hi:[1,0,1] neg_lo:[1,0,0] neg_hi:[1,0,0]
	v_pk_mov_b32 v[26:27], v[22:23], v[26:27] op_sel:[1,0]
	s_nop 0
	v_pk_fma_f32 v[10:11], v[26:27], v[48:49], v[10:11] op_sel:[0,1,0]
	global_store_dwordx2 v[8:9], v[10:11], off
	v_pk_fma_f32 v[8:9], v[22:23], v[44:45], v[30:31] op_sel_hi:[1,0,1] neg_lo:[1,0,0] neg_hi:[1,0,0]
	s_nop 0
	v_pk_fma_f32 v[8:9], v[26:27], v[44:45], v[8:9] op_sel:[0,1,0]
	global_store_dwordx2 v[28:29], v[8:9], off
	v_pk_add_f32 v[8:9], v[80:81], 0 neg_lo:[1,1] neg_hi:[1,1]
	s_nop 0
	v_pk_mov_b32 v[8:9], v[80:81], v[8:9] op_sel:[1,0]
	s_nop 0
	v_pk_fma_f32 v[6:7], v[8:9], v[48:49], v[6:7] op_sel:[0,1,0]
	global_store_dwordx2 v[4:5], v[6:7], off
	v_pk_fma_f32 v[4:5], v[80:81], v[44:45], v[24:25] op_sel_hi:[1,0,1] neg_lo:[1,0,0] neg_hi:[1,0,0]
	s_nop 0
	v_pk_fma_f32 v[4:5], v[8:9], v[44:45], v[4:5] op_sel:[0,1,0]
	global_store_dwordx2 v[20:21], v[4:5], off
	v_xor_b32_e32 v4, 0x80000000, v3
	v_mov_b32_e32 v5, v2
	v_pk_mul_f32 v[4:5], v[54:55], v[4:5] op_sel_hi:[0,1]
	v_pk_fma_f32 v[2:3], v[2:3], v[52:53], v[4:5] op_sel_hi:[1,0,1]
	s_nop 0
	v_pk_add_f32 v[4:5], v[34:35], v[2:3] neg_lo:[0,1] neg_hi:[0,1]
	global_store_dwordx2 v[38:39], v[4:5], off
	v_pk_add_f32 v[4:5], v[2:3], 0 neg_lo:[1,1] neg_hi:[1,1]
	v_pk_fma_f32 v[6:7], v[2:3], v[48:49], v[32:33] op_sel_hi:[1,0,1] neg_lo:[1,0,0] neg_hi:[1,0,0]
	v_pk_mov_b32 v[4:5], v[2:3], v[4:5] op_sel:[1,0]
	v_pk_fma_f32 v[2:3], v[2:3], v[44:45], v[16:17] op_sel_hi:[1,0,1] neg_lo:[1,0,0] neg_hi:[1,0,0]
	v_pk_fma_f32 v[6:7], v[4:5], v[48:49], v[6:7] op_sel:[0,1,0]
	v_pk_fma_f32 v[2:3], v[4:5], v[44:45], v[2:3] op_sel:[0,1,0]
	global_store_dwordx2 v[14:15], v[2:3], off
	v_pk_fma_f32 v[2:3], v[44:45], v[62:63], v[18:19] op_sel_hi:[1,0,1] neg_lo:[1,0,0] neg_hi:[1,0,0]
	v_pk_mov_b32 v[4:5], v[44:45], v[50:51] op_sel:[1,0]
	global_store_dwordx2 v[40:41], v[6:7], off
	v_pk_fma_f32 v[2:3], v[4:5], v[62:63], v[2:3] op_sel:[0,1,0]
	global_store_dwordx2 v[12:13], v[2:3], off
.LBB7_5:                                ;   in Loop: Header=BB7_6 Depth=1
	s_or_b64 exec, exec, s[24:25]
	s_add_i32 s31, s31, 1
	v_add_u32_e32 v66, s5, v66
	v_add_u32_e32 v67, s5, v67
	;; [unrolled: 1-line block ×5, first 2 shown]
	s_cmp_eq_u32 s30, s31
	v_add_u32_e32 v71, s6, v71
	s_cbranch_scc1 .LBB7_13
.LBB7_6:                                ; =>This Inner Loop Header: Depth=1
	v_add_u32_e32 v12, s7, v68
	v_add_u32_e32 v4, s7, v69
	v_ashrrev_i32_e32 v13, 31, v12
	v_ashrrev_i32_e32 v5, 31, v4
	s_waitcnt lgkmcnt(0)
	v_lshl_add_u64 v[2:3], v[12:13], 3, s[22:23]
	v_lshl_add_u64 v[32:33], v[4:5], 3, s[20:21]
	global_load_dwordx2 v[48:49], v[2:3], off
	global_load_dwordx2 v[44:45], v[32:33], off
	s_waitcnt vmcnt(1)
	v_xor_b32_e32 v6, 0x80000000, v49
	v_mov_b32_e32 v7, v48
	v_pk_mul_f32 v[6:7], v[48:49], v[6:7] op_sel:[1,0]
	s_waitcnt vmcnt(0)
	v_xor_b32_e32 v8, 0x80000000, v45
	v_pk_fma_f32 v[6:7], v[48:49], v[48:49], v[6:7] op_sel_hi:[1,0,1]
	v_mov_b32_e32 v9, v44
	v_pk_fma_f32 v[6:7], v[44:45], v[44:45], v[6:7] op_sel_hi:[1,0,1]
	v_mov_b32_e32 v52, v48
	v_pk_fma_f32 v[54:55], v[8:9], v[44:45], v[6:7] op_sel:[0,1,0]
	v_mov_b32_e32 v53, v48
	v_cmp_neq_f32_e32 vcc, 0, v54
	v_cmp_neq_f32_e64 s[2:3], 0, v55
	v_mov_b32_e32 v50, v44
	v_mov_b32_e32 v51, v44
	s_or_b64 s[2:3], vcc, s[2:3]
	s_and_saveexec_b64 s[24:25], s[2:3]
	s_cbranch_execz .LBB7_5
; %bb.7:                                ;   in Loop: Header=BB7_6 Depth=1
	v_add_u32_e32 v46, s7, v71
	v_lshlrev_b64 v[4:5], 3, v[4:5]
	v_ashrrev_i32_e32 v47, 31, v46
	v_lshl_add_u64 v[36:37], s[12:13], 0, v[4:5]
	v_lshl_add_u64 v[62:63], v[46:47], 3, s[12:13]
	global_load_dwordx2 v[38:39], v[36:37], off
	global_load_dwordx2 v[64:65], v[62:63], off
	v_add_u32_e32 v40, s7, v66
	v_add_u32_e32 v18, s7, v67
	v_ashrrev_i32_e32 v41, 31, v40
	v_lshlrev_b64 v[12:13], 3, v[12:13]
	v_ashrrev_i32_e32 v19, 31, v18
	v_lshl_add_u64 v[8:9], s[14:15], 0, v[4:5]
	v_lshl_add_u64 v[4:5], s[18:19], 0, v[4:5]
	;; [unrolled: 1-line block ×8, first 2 shown]
	global_load_dwordx2 v[10:11], v[8:9], off
	global_load_dwordx2 v[6:7], v[4:5], off
	;; [unrolled: 1-line block ×8, first 2 shown]
                                        ; implicit-def: $vgpr60
	s_waitcnt vmcnt(8)
	v_xor_b32_e32 v56, 0x80000000, v65
	v_pk_fma_f32 v[58:59], v[64:65], v[64:65], v[54:55] op_sel_hi:[1,0,1]
	v_mov_b32_e32 v57, v64
	v_pk_fma_f32 v[56:57], v[56:57], v[64:65], v[58:59] op_sel:[0,1,0]
	s_nop 0
	v_cmp_gt_f32_e32 vcc, 0, v56
	s_nop 1
	v_cndmask_b32_e64 v58, v56, -v56, vcc
	v_cmp_gt_f32_e32 vcc, 0, v57
	s_nop 1
	v_cndmask_b32_e64 v59, v57, -v57, vcc
	v_cmp_ngt_f32_e32 vcc, v58, v59
	s_and_saveexec_b64 s[2:3], vcc
	s_xor_b64 s[26:27], exec, s[2:3]
	s_cbranch_execz .LBB7_11
; %bb.8:                                ;   in Loop: Header=BB7_6 Depth=1
	v_mov_b32_e32 v60, 0
	v_cmp_neq_f32_e32 vcc, 0, v57
	s_and_saveexec_b64 s[28:29], vcc
	s_cbranch_execz .LBB7_10
; %bb.9:                                ;   in Loop: Header=BB7_6 Depth=1
	v_div_scale_f32 v60, s[2:3], v59, v59, v58
	v_rcp_f32_e32 v61, v60
	v_div_scale_f32 v73, vcc, v58, v59, v58
	v_fma_f32 v74, -v60, v61, 1.0
	v_fmac_f32_e32 v61, v74, v61
	v_mul_f32_e32 v74, v73, v61
	v_fma_f32 v75, -v60, v74, v73
	v_fmac_f32_e32 v74, v75, v61
	v_fma_f32 v60, -v60, v74, v73
	v_div_fmas_f32 v60, v60, v61, v74
	v_div_fixup_f32 v58, v60, v59, v58
	v_fma_f32 v58, v58, v58, 1.0
	v_mul_f32_e32 v60, 0x4f800000, v58
	v_cmp_gt_f32_e32 vcc, s33, v58
	s_nop 1
	v_cndmask_b32_e32 v58, v58, v60, vcc
	v_sqrt_f32_e32 v60, v58
	s_nop 0
	v_add_u32_e32 v61, -1, v60
	v_fma_f32 v73, -v61, v60, v58
	v_cmp_ge_f32_e64 s[2:3], 0, v73
	v_add_u32_e32 v73, 1, v60
	s_nop 0
	v_cndmask_b32_e64 v61, v60, v61, s[2:3]
	v_fma_f32 v60, -v73, v60, v58
	v_cmp_lt_f32_e64 s[2:3], 0, v60
	s_nop 1
	v_cndmask_b32_e64 v60, v61, v73, s[2:3]
	v_mul_f32_e32 v61, 0x37800000, v60
	v_cndmask_b32_e32 v60, v60, v61, vcc
	v_cmp_class_f32_e32 vcc, v58, v70
	s_nop 1
	v_cndmask_b32_e32 v58, v60, v58, vcc
	v_mul_f32_e32 v60, v59, v58
.LBB7_10:                               ;   in Loop: Header=BB7_6 Depth=1
	s_or_b64 exec, exec, s[28:29]
                                        ; implicit-def: $vgpr58
                                        ; implicit-def: $vgpr59
.LBB7_11:                               ;   in Loop: Header=BB7_6 Depth=1
	s_andn2_saveexec_b64 s[26:27], s[26:27]
	s_cbranch_execz .LBB7_4
; %bb.12:                               ;   in Loop: Header=BB7_6 Depth=1
	v_div_scale_f32 v60, s[2:3], v58, v58, v59
	v_rcp_f32_e32 v61, v60
	v_div_scale_f32 v73, vcc, v59, v58, v59
	v_fma_f32 v74, -v60, v61, 1.0
	v_fmac_f32_e32 v61, v74, v61
	v_mul_f32_e32 v74, v73, v61
	v_fma_f32 v75, -v60, v74, v73
	v_fmac_f32_e32 v74, v75, v61
	v_fma_f32 v60, -v60, v74, v73
	v_div_fmas_f32 v60, v60, v61, v74
	v_div_fixup_f32 v59, v60, v58, v59
	v_fma_f32 v59, v59, v59, 1.0
	v_mul_f32_e32 v60, 0x4f800000, v59
	v_cmp_gt_f32_e32 vcc, s33, v59
	s_nop 1
	v_cndmask_b32_e32 v59, v59, v60, vcc
	v_sqrt_f32_e32 v60, v59
	s_nop 0
	v_add_u32_e32 v61, -1, v60
	v_fma_f32 v73, -v61, v60, v59
	v_cmp_ge_f32_e64 s[2:3], 0, v73
	v_add_u32_e32 v73, 1, v60
	s_nop 0
	v_cndmask_b32_e64 v61, v60, v61, s[2:3]
	v_fma_f32 v60, -v73, v60, v59
	v_cmp_lt_f32_e64 s[2:3], 0, v60
	s_nop 1
	v_cndmask_b32_e64 v60, v61, v73, s[2:3]
	v_mul_f32_e32 v61, 0x37800000, v60
	v_cndmask_b32_e32 v60, v60, v61, vcc
	v_cmp_class_f32_e32 vcc, v59, v70
	s_nop 1
	v_cndmask_b32_e32 v59, v60, v59, vcc
	v_mul_f32_e32 v60, v58, v59
	s_branch .LBB7_4
.LBB7_13:
	s_mov_b32 s22, s30
.LBB7_14:
	s_mul_i32 s2, s22, s6
	v_add_u32_e32 v32, s2, v1
	v_add_u32_e32 v2, s6, v32
	v_ashrrev_i32_e32 v3, 31, v2
	s_waitcnt lgkmcnt(0)
	v_lshl_add_u64 v[14:15], v[2:3], 3, s[20:21]
	global_load_dwordx2 v[22:23], v[14:15], off
	s_waitcnt vmcnt(0)
	v_xor_b32_e32 v4, 0x80000000, v23
	v_pk_fma_f32 v[6:7], v[22:23], v[22:23], 0 op_sel_hi:[1,0,0]
	v_mov_b32_e32 v5, v22
	v_pk_fma_f32 v[30:31], v[4:5], v[22:23], v[6:7] op_sel:[0,1,0]
	v_mov_b32_e32 v20, v23
	v_cmp_neq_f32_e32 vcc, 0, v30
	v_cmp_neq_f32_e64 s[2:3], 0, v31
	v_mov_b32_e32 v24, v22
	v_mov_b32_e32 v25, v22
	s_or_b64 s[2:3], vcc, s[2:3]
	s_and_saveexec_b64 s[20:21], s[2:3]
	s_cbranch_execz .LBB7_22
; %bb.15:
	v_ashrrev_i32_e32 v33, 31, v32
	v_lshl_add_u64 v[26:27], v[32:33], 3, s[12:13]
	global_load_dwordx2 v[28:29], v[26:27], off
	s_mul_i32 s2, s22, s5
	v_add_u32_e32 v36, s2, v1
	v_add_u32_e32 v34, s5, v36
	v_lshlrev_b64 v[2:3], 3, v[2:3]
	v_ashrrev_i32_e32 v35, 31, v34
	v_lshl_add_u64 v[16:17], s[12:13], 0, v[2:3]
	v_lshl_add_u64 v[8:9], s[14:15], 0, v[2:3]
	;; [unrolled: 1-line block ×4, first 2 shown]
	global_load_dwordx2 v[18:19], v[16:17], off
	global_load_dwordx2 v[12:13], v[8:9], off
	;; [unrolled: 1-line block ×4, first 2 shown]
	s_waitcnt vmcnt(4)
	v_xor_b32_e32 v38, 0x80000000, v29
	v_pk_fma_f32 v[40:41], v[28:29], v[28:29], v[30:31] op_sel_hi:[1,0,1]
	v_mov_b32_e32 v39, v28
	v_pk_fma_f32 v[38:39], v[38:39], v[28:29], v[40:41] op_sel:[0,1,0]
                                        ; implicit-def: $vgpr40
	s_nop 0
	v_cmp_gt_f32_e32 vcc, 0, v38
	s_nop 1
	v_cndmask_b32_e64 v1, v38, -v38, vcc
	v_cmp_gt_f32_e32 vcc, 0, v39
	s_nop 1
	v_cndmask_b32_e64 v37, v39, -v39, vcc
	v_cmp_ngt_f32_e32 vcc, v1, v37
	s_and_saveexec_b64 s[2:3], vcc
	s_xor_b64 s[22:23], exec, s[2:3]
	s_cbranch_execz .LBB7_19
; %bb.16:
	v_mov_b32_e32 v40, 0
	v_cmp_neq_f32_e32 vcc, 0, v39
	s_and_saveexec_b64 s[24:25], vcc
	s_cbranch_execz .LBB7_18
; %bb.17:
	v_div_scale_f32 v21, s[2:3], v37, v37, v1
	v_rcp_f32_e32 v40, v21
	v_div_scale_f32 v41, vcc, v1, v37, v1
	s_mov_b32 s2, 0xf800000
	v_fma_f32 v42, -v21, v40, 1.0
	v_fmac_f32_e32 v40, v42, v40
	v_mul_f32_e32 v42, v41, v40
	v_fma_f32 v43, -v21, v42, v41
	v_fmac_f32_e32 v42, v43, v40
	v_fma_f32 v21, -v21, v42, v41
	v_div_fmas_f32 v21, v21, v40, v42
	v_div_fixup_f32 v1, v21, v37, v1
	v_fma_f32 v1, v1, v1, 1.0
	v_mul_f32_e32 v21, 0x4f800000, v1
	v_cmp_gt_f32_e32 vcc, s2, v1
	s_nop 1
	v_cndmask_b32_e32 v1, v1, v21, vcc
	v_sqrt_f32_e32 v21, v1
	s_nop 0
	v_add_u32_e32 v40, -1, v21
	v_fma_f32 v41, -v40, v21, v1
	v_cmp_ge_f32_e64 s[2:3], 0, v41
	v_add_u32_e32 v41, 1, v21
	s_nop 0
	v_cndmask_b32_e64 v40, v21, v40, s[2:3]
	v_fma_f32 v21, -v41, v21, v1
	v_cmp_lt_f32_e64 s[2:3], 0, v21
	s_nop 1
	v_cndmask_b32_e64 v21, v40, v41, s[2:3]
	v_mul_f32_e32 v40, 0x37800000, v21
	v_cndmask_b32_e32 v21, v21, v40, vcc
	v_mov_b32_e32 v40, 0x260
	v_cmp_class_f32_e32 vcc, v1, v40
	s_nop 1
	v_cndmask_b32_e32 v1, v21, v1, vcc
	v_mul_f32_e32 v40, v37, v1
.LBB7_18:
	s_or_b64 exec, exec, s[24:25]
                                        ; implicit-def: $vgpr1
                                        ; implicit-def: $vgpr37
.LBB7_19:
	s_or_saveexec_b64 s[22:23], s[22:23]
	v_mov_b32_e32 v21, v23
	s_xor_b64 exec, exec, s[22:23]
	s_cbranch_execz .LBB7_21
; %bb.20:
	v_div_scale_f32 v40, s[2:3], v1, v1, v37
	v_rcp_f32_e32 v41, v40
	v_div_scale_f32 v42, vcc, v37, v1, v37
	s_mov_b32 s2, 0xf800000
	v_fma_f32 v43, -v40, v41, 1.0
	v_fmac_f32_e32 v41, v43, v41
	v_mul_f32_e32 v43, v42, v41
	v_fma_f32 v44, -v40, v43, v42
	v_fmac_f32_e32 v43, v44, v41
	v_fma_f32 v40, -v40, v43, v42
	v_div_fmas_f32 v40, v40, v41, v43
	v_div_fixup_f32 v37, v40, v1, v37
	v_fma_f32 v37, v37, v37, 1.0
	v_mul_f32_e32 v40, 0x4f800000, v37
	v_cmp_gt_f32_e32 vcc, s2, v37
	s_nop 1
	v_cndmask_b32_e32 v37, v37, v40, vcc
	v_sqrt_f32_e32 v40, v37
	s_nop 0
	v_add_u32_e32 v41, -1, v40
	v_fma_f32 v42, -v41, v40, v37
	v_cmp_ge_f32_e64 s[2:3], 0, v42
	v_add_u32_e32 v42, 1, v40
	s_nop 0
	v_cndmask_b32_e64 v41, v40, v41, s[2:3]
	v_fma_f32 v40, -v42, v40, v37
	v_cmp_lt_f32_e64 s[2:3], 0, v40
	s_nop 1
	v_cndmask_b32_e64 v40, v41, v42, s[2:3]
	v_mul_f32_e32 v41, 0x37800000, v40
	v_cndmask_b32_e32 v40, v40, v41, vcc
	v_mov_b32_e32 v41, 0x260
	v_cmp_class_f32_e32 vcc, v37, v41
	s_nop 1
	v_cndmask_b32_e32 v37, v40, v37, vcc
	v_mul_f32_e32 v40, v1, v37
.LBB7_21:
	s_or_b64 exec, exec, s[22:23]
	v_add_f32_e32 v1, v38, v40
	v_mul_f32_e32 v1, 0.5, v1
	s_mov_b32 s22, 0xf800000
	v_mul_f32_e32 v37, 0x4f800000, v1
	v_cmp_gt_f32_e32 vcc, s22, v1
	v_sub_f32_e32 v38, v40, v38
	v_mul_f32_e32 v38, 0.5, v38
	v_cndmask_b32_e32 v1, v1, v37, vcc
	v_sqrt_f32_e32 v37, v1
	v_mul_f32_e32 v40, 0x4f800000, v38
	v_lshlrev_b64 v[32:33], 3, v[32:33]
	v_lshl_add_u64 v[34:35], v[34:35], 3, s[8:9]
	v_add_u32_e32 v41, -1, v37
	v_fma_f32 v42, -v41, v37, v1
	v_cmp_ge_f32_e64 s[2:3], 0, v42
	v_add_u32_e32 v42, 1, v37
	s_nop 0
	v_cndmask_b32_e64 v41, v37, v41, s[2:3]
	v_fma_f32 v37, -v42, v37, v1
	v_cmp_lt_f32_e64 s[2:3], 0, v37
	s_nop 1
	v_cndmask_b32_e64 v37, v41, v42, s[2:3]
	v_mul_f32_e32 v41, 0x37800000, v37
	v_cndmask_b32_e32 v37, v37, v41, vcc
	v_cmp_gt_f32_e32 vcc, s22, v38
	v_mov_b32_e32 v41, 0x260
	v_cmp_class_f32_e64 s[2:3], v1, v41
	v_cndmask_b32_e32 v38, v38, v40, vcc
	v_sqrt_f32_e32 v40, v38
	v_cndmask_b32_e64 v1, v37, v1, s[2:3]
	v_add_u32_e32 v37, -1, v40
	v_fma_f32 v42, -v37, v40, v38
	v_cmp_ge_f32_e64 s[2:3], 0, v42
	v_add_u32_e32 v42, 1, v40
	s_nop 0
	v_cndmask_b32_e64 v37, v40, v37, s[2:3]
	v_fma_f32 v40, -v42, v40, v38
	v_cmp_lt_f32_e64 s[2:3], 0, v40
	s_nop 1
	v_cndmask_b32_e64 v37, v37, v42, s[2:3]
	v_mul_f32_e32 v40, 0x37800000, v37
	v_cndmask_b32_e32 v37, v37, v40, vcc
	v_cmp_class_f32_e32 vcc, v38, v41
	s_nop 1
	v_cndmask_b32_e32 v37, v37, v38, vcc
	v_cmp_gt_f32_e32 vcc, 0, v39
	s_nop 1
	v_cndmask_b32_e64 v37, v37, -v37, vcc
	v_cmp_lt_f32_e32 vcc, 0, v28
	s_nop 1
	v_cndmask_b32_e64 v1, -v1, v1, vcc
	v_add_f32_e32 v38, v28, v1
	v_cndmask_b32_e64 v1, -v37, v37, vcc
	v_ashrrev_i32_e32 v37, 31, v36
	v_lshlrev_b64 v[42:43], 3, v[36:37]
	v_lshl_add_u64 v[44:45], s[8:9], 0, v[42:43]
	global_load_dwordx2 v[46:47], v[44:45], off
	v_add_f32_e32 v40, v29, v1
	v_mul_f32_e32 v1, v40, v40
	v_fmac_f32_e32 v1, v38, v38
	v_div_scale_f32 v39, s[2:3], v1, v1, 1.0
	v_rcp_f32_e32 v41, v39
	v_div_scale_f32 v52, vcc, 1.0, v1, 1.0
	s_mov_b32 s2, 0
	v_fma_f32 v48, -v39, v41, 1.0
	v_fmac_f32_e32 v41, v48, v41
	v_mul_f32_e32 v53, v52, v41
	v_fma_f32 v54, -v39, v53, v52
	v_fmac_f32_e32 v53, v54, v41
	v_fma_f32 v39, -v39, v53, v52
	v_div_fmas_f32 v39, v39, v41, v53
	v_div_fixup_f32 v52, v39, v1, 1.0
	v_mul_f32_e32 v39, v38, v40
	v_mul_f32_e64 v1, v40, -v40
	v_fmac_f32_e32 v39, v40, v38
	v_lshl_add_u64 v[48:49], s[14:15], 0, v[32:33]
	v_fmac_f32_e32 v1, v38, v38
	v_add_f32_e32 v53, v31, v39
	global_load_dwordx2 v[50:51], v[48:49], off
	v_add_f32_e32 v30, v30, v1
	v_mul_f32_e32 v60, v53, v53
	v_fmac_f32_e32 v60, v30, v30
	v_div_scale_f32 v31, s[22:23], v60, v60, 1.0
	v_rcp_f32_e32 v54, v31
	v_mul_f32_e32 v41, 0x80000000, v39
	v_add_f32_e32 v39, v39, v39
	v_fmac_f32_e32 v41, 2.0, v1
	v_fmac_f32_e32 v39, 0, v1
	v_fma_f32 v1, -v31, v54, 1.0
	v_fmac_f32_e32 v54, v1, v54
	v_div_scale_f32 v1, vcc, 1.0, v60, 1.0
	v_mul_f32_e32 v55, v1, v54
	v_fma_f32 v56, -v31, v55, v1
	v_fmac_f32_e32 v55, v56, v54
	v_fma_f32 v1, -v31, v55, v1
	v_div_fmas_f32 v1, v1, v54, v55
	v_lshl_add_u64 v[54:55], s[16:17], 0, v[42:43]
	global_load_dwordx2 v[56:57], v[54:55], off
	s_brev_b32 s3, 1
	v_div_fixup_f32 v1, v1, v60, 1.0
	v_mul_f32_e32 v60, v53, v39
	v_pk_mul_f32 v[58:59], v[40:41], s[2:3] op_sel_hi:[0,1]
	v_fmac_f32_e32 v60, v41, v30
	v_mul_f32_e64 v41, v53, -v41
	v_lshl_add_u64 v[32:33], s[18:19], 0, v[32:33]
	v_xor_b32_e32 v31, 0x80000000, v22
	v_fmac_f32_e32 v41, v39, v30
	global_load_dwordx2 v[62:63], v[32:33], off
	v_mov_b32_e32 v30, v23
	v_pk_mul_f32 v[30:31], v[40:41], v[30:31] op_sel_hi:[0,1]
	v_pk_fma_f32 v[22:23], v[22:23], v[38:39], v[30:31] op_sel_hi:[1,0,1]
	v_pk_fma_f32 v[58:59], v[38:39], 0, v[58:59] op_sel_hi:[0,0,1]
	v_pk_mul_f32 v[22:23], v[22:23], v[52:53] op_sel_hi:[1,0]
	v_pk_mul_f32 v[58:59], v[58:59], v[52:53] op_sel_hi:[1,0]
	v_pk_add_f32 v[30:31], v[22:23], 0 neg_lo:[1,1] neg_hi:[1,1]
	v_pk_fma_f32 v[24:25], v[22:23], v[24:25], v[28:29]
	v_pk_mov_b32 v[38:39], v[30:31], v[22:23] op_sel:[1,0]
	v_xor_b32_e32 v68, 0x80000000, v59
	v_pk_fma_f32 v[20:21], v[38:39], v[20:21], v[24:25]
	v_mov_b32_e32 v69, v58
	v_pk_fma_f32 v[20:21], v[58:59], 0, v[20:21] op_sel_hi:[1,0,1]
	v_mul_f32_e32 v64, v41, v1
	v_pk_fma_f32 v[20:21], v[68:69], 0, v[20:21] op_sel_hi:[1,0,1]
	v_mul_f32_e32 v60, v1, v60
	v_xor_b32_e32 v24, 0x80000000, v21
	v_mov_b32_e32 v25, v20
	v_pk_mul_f32 v[24:25], v[64:65], v[24:25] op_sel_hi:[0,1]
	v_pk_fma_f32 v[20:21], v[20:21], v[60:61], v[24:25] op_sel_hi:[1,0,1]
	v_lshl_add_u64 v[42:43], s[10:11], 0, v[42:43]
	v_pk_add_f32 v[20:21], v[28:29], v[20:21] neg_lo:[0,1] neg_hi:[0,1]
	global_load_dwordx2 v[36:37], v[34:35], off
	global_load_dwordx2 v[66:67], v[42:43], off
	v_fma_f32 v40, v23, v22, 0
	global_store_dwordx2 v[26:27], v[20:21], off
	s_waitcnt vmcnt(6)
	v_pk_fma_f32 v[20:21], v[22:23], v[10:11], v[46:47] op_sel_hi:[1,0,1]
	v_fma_f32 v1, v22, v22, 1.0
	v_pk_fma_f32 v[20:21], v[38:39], v[10:11], v[20:21] op_sel:[0,1,0]
	v_fmac_f32_e32 v40, v22, v23
	v_pk_fma_f32 v[20:21], v[58:59], 0, v[20:21] op_sel_hi:[1,0,1]
	v_fmac_f32_e32 v40, v59, v58
	v_pk_fma_f32 v[20:21], v[68:69], 0, v[20:21] op_sel_hi:[1,0,1]
	v_fma_f32 v1, -v23, v23, v1
	v_xor_b32_e32 v24, 0x80000000, v21
	v_mov_b32_e32 v25, v20
	v_pk_mul_f32 v[24:25], v[64:65], v[24:25] op_sel_hi:[0,1]
	v_pk_fma_f32 v[20:21], v[20:21], v[60:61], v[24:25] op_sel_hi:[1,0,1]
	v_fmac_f32_e32 v40, v58, v59
	v_pk_add_f32 v[24:25], v[46:47], v[20:21] neg_lo:[0,1] neg_hi:[0,1]
	global_store_dwordx2 v[44:45], v[24:25], off
	global_load_dwordx2 v[28:29], v[34:35], off
	v_fmac_f32_e32 v1, v58, v58
	v_mul_f32_e32 v41, v40, v40
	v_fma_f32 v1, -v59, v59, v1
	v_fmac_f32_e32 v41, v1, v1
	v_div_scale_f32 v44, s[2:3], v41, v41, 1.0
	s_waitcnt vmcnt(7)
	v_pk_fma_f32 v[24:25], v[22:23], v[18:19], v[50:51] op_sel_hi:[1,0,1]
	v_rcp_f32_e32 v45, v44
	v_pk_fma_f32 v[24:25], v[38:39], v[18:19], v[24:25] op_sel:[0,1,0]
	v_mul_f32_e32 v46, 0, v40
	v_pk_fma_f32 v[24:25], v[58:59], 0, v[24:25] op_sel_hi:[1,0,1]
	v_fmac_f32_e32 v46, 2.0, v1
	v_pk_fma_f32 v[24:25], v[68:69], 0, v[24:25] op_sel_hi:[1,0,1]
	v_pk_fma_f32 v[10:11], v[20:21], v[22:23], v[10:11] op_sel_hi:[1,0,1] neg_lo:[1,0,0] neg_hi:[1,0,0]
	v_xor_b32_e32 v26, 0x80000000, v25
	v_mov_b32_e32 v27, v24
	v_pk_mul_f32 v[26:27], v[64:65], v[26:27] op_sel_hi:[0,1]
	v_pk_fma_f32 v[24:25], v[24:25], v[60:61], v[26:27] op_sel_hi:[1,0,1]
	s_nop 0
	v_pk_add_f32 v[26:27], v[50:51], v[24:25] neg_lo:[0,1] neg_hi:[0,1]
	global_store_dwordx2 v[48:49], v[26:27], off
	global_store_dwordx2 v[14:15], v[22:23], off
	v_fma_f32 v14, -v44, v45, 1.0
	v_fmac_f32_e32 v45, v14, v45
	v_div_scale_f32 v14, vcc, 1.0, v41, 1.0
	v_mul_f32_e32 v15, v14, v45
	v_fma_f32 v26, -v44, v15, v14
	v_fmac_f32_e32 v15, v26, v45
	v_fma_f32 v14, -v44, v15, v14
	v_div_fmas_f32 v27, v14, v45, v15
	s_waitcnt vmcnt(8)
	v_pk_fma_f32 v[14:15], v[22:23], v[4:5], v[56:57] op_sel_hi:[1,0,1]
	v_mul_f32_e32 v26, -2.0, v40
	v_pk_fma_f32 v[14:15], v[38:39], v[4:5], v[14:15] op_sel:[0,1,0]
	v_div_fixup_f32 v44, v27, v41, 1.0
	v_pk_fma_f32 v[14:15], v[58:59], 0, v[14:15] op_sel_hi:[1,0,1]
	v_fmac_f32_e32 v26, 0, v1
	v_pk_fma_f32 v[14:15], v[68:69], 0, v[14:15] op_sel_hi:[1,0,1]
	v_mul_f32_e32 v26, v26, v44
	v_xor_b32_e32 v40, 0x80000000, v15
	v_mov_b32_e32 v41, v14
	v_pk_mul_f32 v[26:27], v[26:27], v[40:41] op_sel_hi:[0,1]
	v_mul_f32_e32 v44, v46, v44
	v_pk_fma_f32 v[14:15], v[14:15], v[44:45], v[26:27] op_sel_hi:[1,0,1]
	v_pk_fma_f32 v[18:19], v[24:25], v[22:23], v[18:19] op_sel_hi:[1,0,1] neg_lo:[1,0,0] neg_hi:[1,0,0]
	v_pk_add_f32 v[44:45], v[56:57], v[14:15] neg_lo:[0,1] neg_hi:[0,1]
	global_store_dwordx2 v[54:55], v[44:45], off
	v_pk_add_f32 v[44:45], v[24:25], 0 neg_lo:[1,1] neg_hi:[1,1]
	s_waitcnt vmcnt(8)
	v_pk_fma_f32 v[40:41], v[22:23], v[12:13], v[62:63] op_sel_hi:[1,0,1]
	v_pk_mov_b32 v[24:25], v[24:25], v[44:45] op_sel:[1,0]
	v_pk_fma_f32 v[4:5], v[22:23], v[14:15], v[4:5] op_sel_hi:[1,0,1] neg_lo:[1,0,0] neg_hi:[1,0,0]
	v_pk_fma_f32 v[18:19], v[24:25], v[22:23], v[18:19] op_sel:[0,1,0]
	global_store_dwordx2 v[16:17], v[18:19], off
	v_pk_fma_f32 v[16:17], v[38:39], v[12:13], v[40:41] op_sel:[0,1,0]
	s_waitcnt vmcnt(7)
	v_pk_fma_f32 v[26:27], v[22:23], v[36:37], v[66:67] op_sel_hi:[1,0,1]
	v_pk_fma_f32 v[16:17], v[58:59], 0, v[16:17] op_sel_hi:[1,0,1]
	s_nop 0
	v_pk_fma_f32 v[16:17], v[68:69], 0, v[16:17] op_sel_hi:[1,0,1]
	s_nop 0
	v_xor_b32_e32 v18, 0x80000000, v17
	v_mov_b32_e32 v19, v16
	v_pk_mul_f32 v[18:19], v[64:65], v[18:19] op_sel_hi:[0,1]
	v_pk_fma_f32 v[16:17], v[16:17], v[60:61], v[18:19] op_sel_hi:[1,0,1]
	s_nop 0
	v_pk_add_f32 v[18:19], v[62:63], v[16:17] neg_lo:[0,1] neg_hi:[0,1]
	global_store_dwordx2 v[32:33], v[18:19], off
	v_pk_add_f32 v[18:19], v[16:17], 0 neg_lo:[1,1] neg_hi:[1,1]
	v_pk_fma_f32 v[12:13], v[16:17], v[22:23], v[12:13] op_sel_hi:[1,0,1] neg_lo:[1,0,0] neg_hi:[1,0,0]
	v_pk_mov_b32 v[16:17], v[16:17], v[18:19] op_sel:[1,0]
	s_nop 0
	v_pk_fma_f32 v[12:13], v[16:17], v[22:23], v[12:13] op_sel:[0,1,0]
	global_store_dwordx2 v[8:9], v[12:13], off
	v_pk_add_f32 v[8:9], v[20:21], 0 neg_lo:[1,1] neg_hi:[1,1]
	s_nop 0
	v_pk_mov_b32 v[8:9], v[20:21], v[8:9] op_sel:[1,0]
	s_nop 0
	v_pk_fma_f32 v[8:9], v[8:9], v[22:23], v[10:11] op_sel:[0,1,0]
	global_store_dwordx2 v[6:7], v[8:9], off
	v_pk_fma_f32 v[6:7], v[38:39], v[36:37], v[26:27] op_sel:[0,1,0]
	s_nop 0
	v_pk_fma_f32 v[6:7], v[58:59], 0, v[6:7] op_sel_hi:[1,0,1]
	s_nop 0
	v_pk_fma_f32 v[6:7], v[68:69], 0, v[6:7] op_sel_hi:[1,0,1]
	s_nop 0
	v_xor_b32_e32 v8, 0x80000000, v7
	v_mov_b32_e32 v9, v6
	v_pk_mul_f32 v[8:9], v[64:65], v[8:9] op_sel_hi:[0,1]
	v_pk_fma_f32 v[6:7], v[6:7], v[60:61], v[8:9] op_sel_hi:[1,0,1]
	s_nop 0
	v_pk_add_f32 v[8:9], v[66:67], v[6:7] neg_lo:[0,1] neg_hi:[0,1]
	global_store_dwordx2 v[42:43], v[8:9], off
	v_pk_add_f32 v[8:9], v[6:7], 0 neg_lo:[1,1] neg_hi:[1,1]
	s_waitcnt vmcnt(8)
	v_pk_fma_f32 v[10:11], v[6:7], v[22:23], v[28:29] op_sel_hi:[1,0,1] neg_lo:[1,0,0] neg_hi:[1,0,0]
	v_pk_mov_b32 v[6:7], v[6:7], v[8:9] op_sel:[1,0]
	s_nop 0
	v_pk_fma_f32 v[6:7], v[6:7], v[22:23], v[10:11] op_sel:[0,1,0]
	global_store_dwordx2 v[34:35], v[6:7], off
	v_pk_mov_b32 v[6:7], v[22:23], v[30:31] op_sel:[1,0]
	s_nop 0
	v_pk_fma_f32 v[4:5], v[6:7], v[14:15], v[4:5] op_sel:[0,1,0]
	global_store_dwordx2 v[2:3], v[4:5], off
.LBB7_22:
	s_or_b64 exec, exec, s[20:21]
.LBB7_23:
	s_cmp_lt_i32 s4, 1
	s_cbranch_scc1 .LBB7_36
; %bb.24:
	s_mul_i32 s2, s6, s4
	v_add_u32_e32 v6, s2, v0
	s_add_i32 s2, s4, 3
	s_mul_i32 s2, s6, s2
	v_add_u32_e32 v7, s2, v0
	s_add_i32 s2, s4, 2
	s_mul_i32 s2, s6, s2
	s_load_dwordx2 s[0:1], s[0:1], 0x38
	v_add_u32_e32 v8, s2, v0
	s_add_i32 s2, s4, 1
	s_mul_i32 s2, s6, s2
	v_add_u32_e32 v9, s2, v0
	s_add_i32 s2, s4, -1
	s_mul_i32 s3, s6, s2
	s_mul_i32 s2, s5, s2
	v_add_u32_e32 v10, s3, v0
	v_add_u32_e32 v11, s2, v0
	v_mov_b32_e32 v12, 0
	s_mov_b32 s20, s4
	s_branch .LBB7_26
.LBB7_25:                               ;   in Loop: Header=BB7_26 Depth=1
	v_lshlrev_b64 v[2:3], 3, v[2:3]
	s_waitcnt lgkmcnt(0)
	v_lshl_add_u64 v[14:15], s[12:13], 0, v[2:3]
	global_load_dwordx2 v[14:15], v[14:15], off
	v_lshl_add_u64 v[4:5], v[4:5], 3, s[16:17]
	global_load_dwordx2 v[4:5], v[4:5], off
	s_add_i32 s21, s20, -1
	v_subrev_u32_e32 v6, s6, v6
	v_subrev_u32_e32 v7, s6, v7
	v_subrev_u32_e32 v8, s6, v8
	v_subrev_u32_e32 v9, s6, v9
	v_subrev_u32_e32 v10, s6, v10
	v_subrev_u32_e32 v11, s5, v11
	v_lshl_add_u64 v[2:3], s[0:1], 0, v[2:3]
	s_cmp_gt_u32 s20, 1
	s_mov_b32 s20, s21
	s_waitcnt vmcnt(1)
	v_mul_f32_e32 v13, v15, v15
	v_fmac_f32_e32 v13, v14, v14
	v_div_scale_f32 v16, s[2:3], v13, v13, 1.0
	v_rcp_f32_e32 v17, v16
	s_waitcnt vmcnt(0)
	v_pk_add_f32 v[0:1], v[4:5], v[0:1] neg_lo:[0,1] neg_hi:[0,1]
	v_div_scale_f32 v18, vcc, 1.0, v13, 1.0
	v_xor_b32_e32 v5, 0x80000000, v0
	v_mov_b32_e32 v4, v1
	v_pk_mul_f32 v[4:5], v[14:15], v[4:5] op_sel:[1,0]
	s_nop 0
	v_pk_fma_f32 v[0:1], v[0:1], v[14:15], v[4:5] op_sel_hi:[1,0,1]
	v_fma_f32 v4, -v16, v17, 1.0
	v_fmac_f32_e32 v17, v4, v17
	v_mul_f32_e32 v4, v18, v17
	v_fma_f32 v5, -v16, v4, v18
	v_fmac_f32_e32 v4, v5, v17
	v_fma_f32 v5, -v16, v4, v18
	v_div_fmas_f32 v4, v5, v17, v4
	v_div_fixup_f32 v4, v4, v13, 1.0
	v_pk_mul_f32 v[0:1], v[4:5], v[0:1] op_sel_hi:[0,1]
	global_store_dwordx2 v[2:3], v[0:1], off
	s_cbranch_scc0 .LBB7_36
.LBB7_26:                               ; =>This Inner Loop Header: Depth=1
	v_add_u32_e32 v2, s7, v10
	v_mov_b32_e32 v13, v12
	s_cmp_ge_i32 s20, s4
	v_ashrrev_i32_e32 v3, 31, v2
	v_mov_b64_e32 v[0:1], v[12:13]
	s_cbranch_scc1 .LBB7_28
; %bb.27:                               ;   in Loop: Header=BB7_26 Depth=1
	v_add_u32_e32 v4, s7, v6
	s_waitcnt lgkmcnt(0)
	v_lshl_add_u64 v[0:1], v[2:3], 3, s[14:15]
	v_ashrrev_i32_e32 v5, 31, v4
	v_lshl_add_u64 v[4:5], v[4:5], 3, s[0:1]
	global_load_dwordx2 v[14:15], v[0:1], off
	global_load_dwordx2 v[16:17], v[4:5], off
	s_waitcnt vmcnt(0)
	v_pk_mul_f32 v[0:1], v[16:17], v[14:15] op_sel:[1,1] op_sel_hi:[1,0] neg_lo:[0,1]
	s_nop 0
	v_pk_fma_f32 v[0:1], v[14:15], v[16:17], v[0:1] op_sel_hi:[1,0,1]
	s_nop 0
	v_pk_add_f32 v[0:1], v[0:1], 0 op_sel_hi:[1,0]
.LBB7_28:                               ;   in Loop: Header=BB7_26 Depth=1
	s_add_i32 s21, s20, 1
	s_cmp_ge_i32 s21, s4
	s_cbranch_scc1 .LBB7_30
; %bb.29:                               ;   in Loop: Header=BB7_26 Depth=1
	v_add_u32_e32 v14, s7, v9
	s_waitcnt lgkmcnt(0)
	v_lshl_add_u64 v[4:5], v[2:3], 3, s[18:19]
	v_ashrrev_i32_e32 v15, 31, v14
	global_load_dwordx2 v[4:5], v[4:5], off
	v_lshl_add_u64 v[14:15], v[14:15], 3, s[0:1]
	global_load_dwordx2 v[14:15], v[14:15], off
	s_waitcnt vmcnt(1)
	v_xor_b32_e32 v16, 0x80000000, v5
	v_mov_b32_e32 v17, v4
	s_waitcnt vmcnt(0)
	v_pk_mul_f32 v[16:17], v[14:15], v[16:17] op_sel:[1,0]
	s_nop 0
	v_pk_fma_f32 v[4:5], v[4:5], v[14:15], v[16:17] op_sel_hi:[1,0,1]
	s_nop 0
	v_pk_add_f32 v[0:1], v[0:1], v[4:5]
.LBB7_30:                               ;   in Loop: Header=BB7_26 Depth=1
	s_add_i32 s21, s21, 1
	v_add_u32_e32 v4, s7, v11
	s_cmp_lt_i32 s21, s4
	s_mov_b64 s[2:3], -1
	s_cbranch_scc0 .LBB7_33
; %bb.31:                               ;   in Loop: Header=BB7_26 Depth=1
	s_andn2_b64 vcc, exec, s[2:3]
	s_cbranch_vccz .LBB7_34
.LBB7_32:                               ;   in Loop: Header=BB7_26 Depth=1
	s_add_i32 s21, s21, 1
	s_cmp_ge_i32 s21, s4
	s_cbranch_scc1 .LBB7_25
	s_branch .LBB7_35
.LBB7_33:                               ;   in Loop: Header=BB7_26 Depth=1
	v_ashrrev_i32_e32 v5, 31, v4
	s_cbranch_execnz .LBB7_32
.LBB7_34:                               ;   in Loop: Header=BB7_26 Depth=1
	v_ashrrev_i32_e32 v5, 31, v4
	v_add_u32_e32 v16, s7, v8
	s_waitcnt lgkmcnt(0)
	v_lshl_add_u64 v[14:15], v[4:5], 3, s[8:9]
	v_ashrrev_i32_e32 v17, 31, v16
	global_load_dwordx2 v[14:15], v[14:15], off
	v_lshl_add_u64 v[16:17], v[16:17], 3, s[0:1]
	global_load_dwordx2 v[16:17], v[16:17], off
	s_waitcnt vmcnt(1)
	v_xor_b32_e32 v18, 0x80000000, v15
	v_mov_b32_e32 v19, v14
	s_waitcnt vmcnt(0)
	v_pk_mul_f32 v[18:19], v[16:17], v[18:19] op_sel:[1,0]
	s_nop 0
	v_pk_fma_f32 v[14:15], v[14:15], v[16:17], v[18:19] op_sel_hi:[1,0,1]
	s_nop 0
	v_pk_add_f32 v[0:1], v[0:1], v[14:15]
	s_add_i32 s21, s21, 1
	s_cmp_ge_i32 s21, s4
	s_cbranch_scc1 .LBB7_25
.LBB7_35:                               ;   in Loop: Header=BB7_26 Depth=1
	v_add_u32_e32 v16, s7, v7
	s_waitcnt lgkmcnt(0)
	v_lshl_add_u64 v[14:15], v[4:5], 3, s[10:11]
	v_ashrrev_i32_e32 v17, 31, v16
	global_load_dwordx2 v[14:15], v[14:15], off
	v_lshl_add_u64 v[16:17], v[16:17], 3, s[0:1]
	global_load_dwordx2 v[16:17], v[16:17], off
	s_waitcnt vmcnt(1)
	v_xor_b32_e32 v18, 0x80000000, v15
	v_mov_b32_e32 v19, v14
	s_waitcnt vmcnt(0)
	v_pk_mul_f32 v[18:19], v[16:17], v[18:19] op_sel:[1,0]
	s_nop 0
	v_pk_fma_f32 v[14:15], v[14:15], v[16:17], v[18:19] op_sel_hi:[1,0,1]
	s_nop 0
	v_pk_add_f32 v[0:1], v[0:1], v[14:15]
	s_branch .LBB7_25
.LBB7_36:
	s_endpgm
	.section	.rodata,"a",@progbits
	.p2align	6, 0x0
	.amdhsa_kernel _ZN9rocsparseL44gpsv_interleaved_batch_householder_qr_kernelILj256E21rocsparse_complex_numIfEEEviiiPT0_S4_S4_S4_S4_S4_S4_S4_S4_
		.amdhsa_group_segment_fixed_size 0
		.amdhsa_private_segment_fixed_size 0
		.amdhsa_kernarg_size 344
		.amdhsa_user_sgpr_count 2
		.amdhsa_user_sgpr_dispatch_ptr 0
		.amdhsa_user_sgpr_queue_ptr 0
		.amdhsa_user_sgpr_kernarg_segment_ptr 1
		.amdhsa_user_sgpr_dispatch_id 0
		.amdhsa_user_sgpr_kernarg_preload_length 0
		.amdhsa_user_sgpr_kernarg_preload_offset 0
		.amdhsa_user_sgpr_private_segment_size 0
		.amdhsa_uses_dynamic_stack 0
		.amdhsa_enable_private_segment 0
		.amdhsa_system_sgpr_workgroup_id_x 1
		.amdhsa_system_sgpr_workgroup_id_y 0
		.amdhsa_system_sgpr_workgroup_id_z 0
		.amdhsa_system_sgpr_workgroup_info 0
		.amdhsa_system_vgpr_workitem_id 0
		.amdhsa_next_free_vgpr 84
		.amdhsa_next_free_sgpr 34
		.amdhsa_accum_offset 84
		.amdhsa_reserve_vcc 1
		.amdhsa_float_round_mode_32 0
		.amdhsa_float_round_mode_16_64 0
		.amdhsa_float_denorm_mode_32 3
		.amdhsa_float_denorm_mode_16_64 3
		.amdhsa_dx10_clamp 1
		.amdhsa_ieee_mode 1
		.amdhsa_fp16_overflow 0
		.amdhsa_tg_split 0
		.amdhsa_exception_fp_ieee_invalid_op 0
		.amdhsa_exception_fp_denorm_src 0
		.amdhsa_exception_fp_ieee_div_zero 0
		.amdhsa_exception_fp_ieee_overflow 0
		.amdhsa_exception_fp_ieee_underflow 0
		.amdhsa_exception_fp_ieee_inexact 0
		.amdhsa_exception_int_div_zero 0
	.end_amdhsa_kernel
	.section	.text._ZN9rocsparseL44gpsv_interleaved_batch_householder_qr_kernelILj256E21rocsparse_complex_numIfEEEviiiPT0_S4_S4_S4_S4_S4_S4_S4_S4_,"axG",@progbits,_ZN9rocsparseL44gpsv_interleaved_batch_householder_qr_kernelILj256E21rocsparse_complex_numIfEEEviiiPT0_S4_S4_S4_S4_S4_S4_S4_S4_,comdat
.Lfunc_end7:
	.size	_ZN9rocsparseL44gpsv_interleaved_batch_householder_qr_kernelILj256E21rocsparse_complex_numIfEEEviiiPT0_S4_S4_S4_S4_S4_S4_S4_S4_, .Lfunc_end7-_ZN9rocsparseL44gpsv_interleaved_batch_householder_qr_kernelILj256E21rocsparse_complex_numIfEEEviiiPT0_S4_S4_S4_S4_S4_S4_S4_S4_
                                        ; -- End function
	.set _ZN9rocsparseL44gpsv_interleaved_batch_householder_qr_kernelILj256E21rocsparse_complex_numIfEEEviiiPT0_S4_S4_S4_S4_S4_S4_S4_S4_.num_vgpr, 84
	.set _ZN9rocsparseL44gpsv_interleaved_batch_householder_qr_kernelILj256E21rocsparse_complex_numIfEEEviiiPT0_S4_S4_S4_S4_S4_S4_S4_S4_.num_agpr, 0
	.set _ZN9rocsparseL44gpsv_interleaved_batch_householder_qr_kernelILj256E21rocsparse_complex_numIfEEEviiiPT0_S4_S4_S4_S4_S4_S4_S4_S4_.numbered_sgpr, 34
	.set _ZN9rocsparseL44gpsv_interleaved_batch_householder_qr_kernelILj256E21rocsparse_complex_numIfEEEviiiPT0_S4_S4_S4_S4_S4_S4_S4_S4_.num_named_barrier, 0
	.set _ZN9rocsparseL44gpsv_interleaved_batch_householder_qr_kernelILj256E21rocsparse_complex_numIfEEEviiiPT0_S4_S4_S4_S4_S4_S4_S4_S4_.private_seg_size, 0
	.set _ZN9rocsparseL44gpsv_interleaved_batch_householder_qr_kernelILj256E21rocsparse_complex_numIfEEEviiiPT0_S4_S4_S4_S4_S4_S4_S4_S4_.uses_vcc, 1
	.set _ZN9rocsparseL44gpsv_interleaved_batch_householder_qr_kernelILj256E21rocsparse_complex_numIfEEEviiiPT0_S4_S4_S4_S4_S4_S4_S4_S4_.uses_flat_scratch, 0
	.set _ZN9rocsparseL44gpsv_interleaved_batch_householder_qr_kernelILj256E21rocsparse_complex_numIfEEEviiiPT0_S4_S4_S4_S4_S4_S4_S4_S4_.has_dyn_sized_stack, 0
	.set _ZN9rocsparseL44gpsv_interleaved_batch_householder_qr_kernelILj256E21rocsparse_complex_numIfEEEviiiPT0_S4_S4_S4_S4_S4_S4_S4_S4_.has_recursion, 0
	.set _ZN9rocsparseL44gpsv_interleaved_batch_householder_qr_kernelILj256E21rocsparse_complex_numIfEEEviiiPT0_S4_S4_S4_S4_S4_S4_S4_S4_.has_indirect_call, 0
	.section	.AMDGPU.csdata,"",@progbits
; Kernel info:
; codeLenInByte = 6128
; TotalNumSgprs: 40
; NumVgprs: 84
; NumAgprs: 0
; TotalNumVgprs: 84
; ScratchSize: 0
; MemoryBound: 0
; FloatMode: 240
; IeeeMode: 1
; LDSByteSize: 0 bytes/workgroup (compile time only)
; SGPRBlocks: 4
; VGPRBlocks: 10
; NumSGPRsForWavesPerEU: 40
; NumVGPRsForWavesPerEU: 84
; AccumOffset: 84
; Occupancy: 5
; WaveLimiterHint : 0
; COMPUTE_PGM_RSRC2:SCRATCH_EN: 0
; COMPUTE_PGM_RSRC2:USER_SGPR: 2
; COMPUTE_PGM_RSRC2:TRAP_HANDLER: 0
; COMPUTE_PGM_RSRC2:TGID_X_EN: 1
; COMPUTE_PGM_RSRC2:TGID_Y_EN: 0
; COMPUTE_PGM_RSRC2:TGID_Z_EN: 0
; COMPUTE_PGM_RSRC2:TIDIG_COMP_CNT: 0
; COMPUTE_PGM_RSRC3_GFX90A:ACCUM_OFFSET: 20
; COMPUTE_PGM_RSRC3_GFX90A:TG_SPLIT: 0
	.section	.text._ZN9rocsparseL39gpsv_interleaved_batch_givens_qr_kernelILj128E21rocsparse_complex_numIfEEEviiiPT0_S4_S4_S4_S4_S4_S4_S4_,"axG",@progbits,_ZN9rocsparseL39gpsv_interleaved_batch_givens_qr_kernelILj128E21rocsparse_complex_numIfEEEviiiPT0_S4_S4_S4_S4_S4_S4_S4_,comdat
	.globl	_ZN9rocsparseL39gpsv_interleaved_batch_givens_qr_kernelILj128E21rocsparse_complex_numIfEEEviiiPT0_S4_S4_S4_S4_S4_S4_S4_ ; -- Begin function _ZN9rocsparseL39gpsv_interleaved_batch_givens_qr_kernelILj128E21rocsparse_complex_numIfEEEviiiPT0_S4_S4_S4_S4_S4_S4_S4_
	.p2align	8
	.type	_ZN9rocsparseL39gpsv_interleaved_batch_givens_qr_kernelILj128E21rocsparse_complex_numIfEEEviiiPT0_S4_S4_S4_S4_S4_S4_S4_,@function
_ZN9rocsparseL39gpsv_interleaved_batch_givens_qr_kernelILj128E21rocsparse_complex_numIfEEEviiiPT0_S4_S4_S4_S4_S4_S4_S4_: ; @_ZN9rocsparseL39gpsv_interleaved_batch_givens_qr_kernelILj128E21rocsparse_complex_numIfEEEviiiPT0_S4_S4_S4_S4_S4_S4_S4_
; %bb.0:
	s_load_dwordx4 s[12:15], s[0:1], 0x0
	s_waitcnt lgkmcnt(0)
	s_lshl_b32 s15, s2, 7
	v_or_b32_e32 v1, s15, v0
	v_cmp_gt_i32_e32 vcc, s13, v1
	s_and_saveexec_b64 s[2:3], vcc
	s_cbranch_execz .LBB8_25
; %bb.1:
	s_load_dwordx2 s[2:3], s[0:1], 0x48
	s_load_dwordx4 s[16:19], s[0:1], 0x38
	s_load_dwordx8 s[4:11], s[0:1], 0x18
	s_add_i32 s26, s12, -2
	s_cmp_lt_i32 s12, 3
	s_cbranch_scc1 .LBB8_16
; %bb.2:
	s_load_dwordx2 s[20:21], s[0:1], 0x10
	s_lshl_b32 s27, s14, 1
	s_mov_b32 s28, 0xf800000
	v_mov_b32_e32 v52, 0x260
	v_mov_b32_e32 v12, v1
	s_mov_b32 s29, s26
	v_mov_b32_e32 v4, v1
	s_branch .LBB8_4
.LBB8_3:                                ;   in Loop: Header=BB8_4 Depth=1
	s_or_b64 exec, exec, s[22:23]
	v_mul_f32_e32 v3, 0x4f800000, v22
	v_cmp_gt_f32_e32 vcc, s28, v22
	v_lshl_add_u64 v[12:13], v[12:13], 3, s[2:3]
	v_xor_b32_e32 v56, 0x80000000, v33
	v_cndmask_b32_e32 v3, v22, v3, vcc
	v_sqrt_f32_e32 v17, v3
	v_mov_b32_e32 v57, v32
	v_lshl_add_u64 v[4:5], v[4:5], 3, s[18:19]
	s_add_i32 s29, s29, -1
	v_add_u32_e32 v22, -1, v17
	v_fma_f32 v24, -v22, v17, v3
	v_add_u32_e32 v23, 1, v17
	v_cmp_ge_f32_e64 s[0:1], 0, v24
	s_cmp_eq_u32 s29, 0
	s_nop 0
	v_cndmask_b32_e64 v22, v17, v22, s[0:1]
	v_fma_f32 v17, -v23, v17, v3
	v_cmp_lt_f32_e64 s[0:1], 0, v17
	s_nop 1
	v_cndmask_b32_e64 v17, v22, v23, s[0:1]
	v_mul_f32_e32 v22, 0x37800000, v17
	v_cndmask_b32_e32 v17, v17, v22, vcc
	v_cmp_class_f32_e32 vcc, v3, v52
	s_nop 1
	v_cndmask_b32_e32 v3, v17, v3, vcc
	v_fma_f32 v17, v3, v3, 0
	v_div_scale_f32 v22, s[0:1], v17, v17, 1.0
	v_rcp_f32_e32 v28, v22
	s_nop 0
	v_fma_f32 v23, -v22, v28, 1.0
	v_fmac_f32_e32 v28, v23, v28
	v_div_scale_f32 v23, vcc, 1.0, v17, 1.0
	v_mul_f32_e32 v29, v23, v28
	v_fma_f32 v24, -v22, v29, v23
	v_fmac_f32_e32 v29, v24, v28
	v_fma_f32 v53, -v22, v29, v23
	global_load_dwordx2 v[22:23], v[12:13], off
	global_load_dwordx2 v[24:25], v[14:15], off
	v_div_fmas_f32 v28, v53, v28, v29
	v_mul_f32_e32 v53, 0x80000000, v33
	v_div_fixup_f32 v17, v28, v17, 1.0
	v_fmac_f32_e32 v53, v32, v3
	v_mul_f32_e32 v54, v53, v17
	v_mul_f32_e32 v53, 0x80000000, v32
	v_fma_f32 v53, -v33, v3, v53
	v_mul_f32_e32 v28, 0x80000000, v51
	v_mul_f32_e32 v58, v53, v17
	v_fmac_f32_e32 v28, v50, v3
	v_mul_f32_e32 v29, 0x80000000, v50
	v_pk_mul_f32 v[56:57], v[58:59], v[56:57] op_sel_hi:[0,1]
	v_mul_f32_e32 v28, v28, v17
	v_pk_fma_f32 v[32:33], v[32:33], v[54:55], v[56:57] op_sel_hi:[1,0,1]
	v_fma_f32 v3, -v51, v3, v29
	v_xor_b32_e32 v56, 0x80000000, v51
	v_pk_fma_f32 v[32:33], v[50:51], v[28:29], v[32:33] op_sel_hi:[1,0,1]
	v_mov_b32_e32 v57, v50
	v_mul_f32_e32 v60, v3, v17
	v_pk_fma_f32 v[32:33], v[56:57], v[60:61], v[32:33] op_sel_hi:[1,0,1]
	global_store_dwordx2 v[46:47], v[32:33], off
	v_pk_mul_f32 v[46:47], v[26:27], v[60:61] op_sel_hi:[1,0] neg_lo:[0,1]
	s_waitcnt vmcnt(6)
	v_pk_mov_b32 v[50:51], v[38:39], v[38:39] op_sel:[1,0]
	v_pk_fma_f32 v[46:47], v[26:27], v[28:29], v[46:47] op_sel:[0,0,1] op_sel_hi:[1,0,0]
	s_waitcnt vmcnt(5)
	v_pk_mov_b32 v[56:57], v[36:37], v[36:37] op_sel:[1,0]
	v_pk_fma_f32 v[46:47], v[38:39], v[54:55], v[46:47] op_sel_hi:[1,0,1] neg_lo:[1,0,0] neg_hi:[1,0,0]
	s_waitcnt vmcnt(4)
	v_pk_mov_b32 v[32:33], v[30:31], v[30:31] op_sel:[1,0]
	v_pk_fma_f32 v[46:47], v[38:39], v[58:59], v[46:47] op_sel:[1,0,0] op_sel_hi:[0,0,1] neg_lo:[0,1,0]
	global_store_dwordx2 v[10:11], v[46:47], off
	v_xor_b32_e32 v10, 0x80000000, v27
	v_mov_b32_e32 v11, v26
	v_pk_mul_f32 v[10:11], v[58:59], v[10:11] op_sel_hi:[0,1]
	v_pk_fma_f32 v[10:11], v[26:27], v[54:55], v[10:11] op_sel_hi:[1,0,1]
	v_pk_add_f32 v[26:27], v[50:51], 0 neg_lo:[1,1] neg_hi:[1,1]
	v_pk_fma_f32 v[10:11], v[38:39], v[28:29], v[10:11] op_sel_hi:[1,0,1]
	v_mov_b32_e32 v27, v38
	v_pk_fma_f32 v[10:11], v[26:27], v[60:61], v[10:11] op_sel_hi:[1,0,1]
	v_pk_mul_f32 v[26:27], v[40:41], v[60:61] op_sel_hi:[1,0] neg_lo:[0,1]
	global_store_dwordx2 v[48:49], v[10:11], off
	v_pk_fma_f32 v[26:27], v[40:41], v[28:29], v[26:27] op_sel:[0,0,1] op_sel_hi:[1,0,0]
	v_xor_b32_e32 v10, 0x80000000, v41
	v_pk_fma_f32 v[26:27], v[36:37], v[54:55], v[26:27] op_sel_hi:[1,0,1] neg_lo:[1,0,0] neg_hi:[1,0,0]
	v_mov_b32_e32 v11, v40
	v_pk_fma_f32 v[26:27], v[36:37], v[58:59], v[26:27] op_sel:[1,0,0] op_sel_hi:[0,0,1] neg_lo:[0,1,0]
	global_store_dwordx2 v[8:9], v[26:27], off
	v_pk_mul_f32 v[8:9], v[58:59], v[10:11] op_sel_hi:[0,1]
	v_pk_fma_f32 v[8:9], v[40:41], v[54:55], v[8:9] op_sel_hi:[1,0,1]
	v_pk_add_f32 v[10:11], v[56:57], 0 neg_lo:[1,1] neg_hi:[1,1]
	v_pk_fma_f32 v[8:9], v[36:37], v[28:29], v[8:9] op_sel_hi:[1,0,1]
	v_mov_b32_e32 v11, v36
	v_pk_fma_f32 v[8:9], v[10:11], v[60:61], v[8:9] op_sel_hi:[1,0,1]
	v_pk_mul_f32 v[10:11], v[44:45], v[60:61] op_sel_hi:[1,0] neg_lo:[0,1]
	global_store_dwordx2 v[42:43], v[8:9], off
	v_pk_fma_f32 v[10:11], v[44:45], v[28:29], v[10:11] op_sel:[0,0,1] op_sel_hi:[1,0,0]
	v_xor_b32_e32 v8, 0x80000000, v45
	v_pk_fma_f32 v[10:11], v[30:31], v[54:55], v[10:11] op_sel_hi:[1,0,1] neg_lo:[1,0,0] neg_hi:[1,0,0]
	v_mov_b32_e32 v9, v44
	v_pk_fma_f32 v[10:11], v[30:31], v[58:59], v[10:11] op_sel:[1,0,0] op_sel_hi:[0,0,1] neg_lo:[0,1,0]
	global_store_dwordx2 v[6:7], v[10:11], off
	v_pk_mul_f32 v[6:7], v[58:59], v[8:9] op_sel_hi:[0,1]
	v_pk_fma_f32 v[6:7], v[44:45], v[54:55], v[6:7] op_sel_hi:[1,0,1]
	v_pk_add_f32 v[8:9], v[32:33], 0 neg_lo:[1,1] neg_hi:[1,1]
	v_pk_fma_f32 v[6:7], v[30:31], v[28:29], v[6:7] op_sel_hi:[1,0,1]
	v_mov_b32_e32 v9, v30
	v_pk_fma_f32 v[6:7], v[8:9], v[60:61], v[6:7] op_sel_hi:[1,0,1]
	global_store_dwordx2 v[34:35], v[6:7], off
	v_xor_b32_e32 v6, 0x80000000, v19
	v_mov_b32_e32 v7, v18
	v_pk_mul_f32 v[6:7], v[58:59], v[6:7] op_sel_hi:[0,1]
	v_pk_fma_f32 v[6:7], v[18:19], v[54:55], v[6:7] op_sel_hi:[1,0,1]
	global_store_dwordx2 v[4:5], v[6:7], off
	v_pk_mul_f32 v[8:9], v[60:61], v[18:19] op_sel_hi:[0,1] neg_lo:[1,0]
	v_pk_fma_f32 v[8:9], v[18:19], v[28:29], v[8:9] op_sel:[0,0,1] op_sel_hi:[1,0,0]
	global_store_dwordx2 v[20:21], v[8:9], off
	s_waitcnt vmcnt(10)
	v_pk_mov_b32 v[4:5], v[22:23], v[22:23] op_sel:[1,0]
	s_waitcnt vmcnt(9)
	v_xor_b32_e32 v6, 0x80000000, v25
	v_mov_b32_e32 v7, v24
	v_pk_mul_f32 v[6:7], v[58:59], v[6:7] op_sel_hi:[0,1]
	v_pk_fma_f32 v[6:7], v[24:25], v[54:55], v[6:7] op_sel_hi:[1,0,1]
	v_pk_add_f32 v[4:5], v[4:5], 0 neg_lo:[1,1] neg_hi:[1,1]
	v_pk_fma_f32 v[6:7], v[22:23], v[28:29], v[6:7] op_sel_hi:[1,0,1]
	v_mov_b32_e32 v5, v22
	v_pk_fma_f32 v[4:5], v[4:5], v[60:61], v[6:7] op_sel_hi:[1,0,1]
	global_store_dwordx2 v[12:13], v[4:5], off
	v_pk_mul_f32 v[4:5], v[60:61], v[24:25] op_sel_hi:[0,1] neg_lo:[1,0]
	v_pk_fma_f32 v[4:5], v[24:25], v[28:29], v[4:5] op_sel:[0,0,1] op_sel_hi:[1,0,0]
	v_mov_b32_e32 v12, v2
	v_pk_fma_f32 v[4:5], v[22:23], v[54:55], v[4:5] op_sel_hi:[1,0,1] neg_lo:[1,0,0] neg_hi:[1,0,0]
	s_nop 0
	v_pk_fma_f32 v[4:5], v[22:23], v[58:59], v[4:5] op_sel:[1,0,0] op_sel_hi:[0,0,1] neg_lo:[0,1,0]
	global_store_dwordx2 v[14:15], v[4:5], off
	v_mov_b32_e32 v4, v16
	s_cbranch_scc1 .LBB8_16
.LBB8_4:                                ; =>This Inner Loop Header: Depth=1
	v_add_u32_e32 v14, s27, v12
	v_ashrrev_i32_e32 v15, 31, v14
	v_lshlrev_b64 v[26:27], 3, v[14:15]
	v_add_u32_e32 v2, s14, v12
	s_waitcnt lgkmcnt(0)
	v_lshl_add_u64 v[6:7], s[20:21], 0, v[26:27]
	v_ashrrev_i32_e32 v3, 31, v2
	global_load_dwordx2 v[18:19], v[6:7], off
	v_lshlrev_b64 v[32:33], 3, v[2:3]
	v_lshl_add_u64 v[16:17], s[4:5], 0, v[32:33]
	v_lshl_add_u64 v[22:23], s[4:5], 0, v[26:27]
	global_load_dwordx2 v[20:21], v[16:17], off
	global_load_dwordx2 v[24:25], v[22:23], off
	v_lshl_add_u64 v[10:11], s[6:7], 0, v[32:33]
	v_lshl_add_u64 v[8:9], s[8:9], 0, v[32:33]
	v_lshl_add_u64 v[6:7], s[10:11], 0, v[32:33]
	v_lshl_add_u64 v[44:45], s[6:7], 0, v[26:27]
	global_load_dwordx2 v[28:29], v[10:11], off
	global_load_dwordx2 v[46:47], v[44:45], off
	v_lshl_add_u64 v[30:31], s[8:9], 0, v[26:27]
	global_load_dwordx2 v[48:49], v[8:9], off
	global_load_dwordx2 v[34:35], v[30:31], off
	v_lshl_add_u64 v[38:39], s[10:11], 0, v[26:27]
	global_load_dwordx2 v[36:37], v[6:7], off
	global_load_dwordx2 v[42:43], v[38:39], off
	s_waitcnt vmcnt(8)
	v_mul_f32_e64 v5, v18, -v19
	v_fmac_f32_e32 v5, v19, v18
	v_mul_f32_e32 v13, v19, v19
	s_waitcnt vmcnt(7)
	v_fmac_f32_e32 v5, v21, v20
	v_fmac_f32_e32 v13, v18, v18
	v_fma_f32 v27, v20, -v21, v5
	v_fmac_f32_e32 v13, v20, v20
	v_cmp_gt_f32_e32 vcc, 0, v27
	v_fmac_f32_e32 v13, v21, v21
                                        ; implicit-def: $vgpr5
	s_nop 0
	v_cndmask_b32_e64 v26, v27, -v27, vcc
	v_cmp_ngt_f32_e32 vcc, v13, v26
	s_and_saveexec_b64 s[0:1], vcc
	s_xor_b64 s[22:23], exec, s[0:1]
	s_cbranch_execz .LBB8_8
; %bb.5:                                ;   in Loop: Header=BB8_4 Depth=1
	v_mov_b32_e32 v5, 0
	v_cmp_neq_f32_e32 vcc, 0, v27
	s_and_saveexec_b64 s[24:25], vcc
	s_cbranch_execz .LBB8_7
; %bb.6:                                ;   in Loop: Header=BB8_4 Depth=1
	v_div_scale_f32 v5, s[0:1], v26, v26, v13
	v_rcp_f32_e32 v27, v5
	v_div_scale_f32 v32, vcc, v13, v26, v13
	v_fma_f32 v33, -v5, v27, 1.0
	v_fmac_f32_e32 v27, v33, v27
	v_mul_f32_e32 v33, v32, v27
	v_fma_f32 v40, -v5, v33, v32
	v_fmac_f32_e32 v33, v40, v27
	v_fma_f32 v5, -v5, v33, v32
	v_div_fmas_f32 v5, v5, v27, v33
	v_div_fixup_f32 v5, v5, v26, v13
	v_fma_f32 v5, v5, v5, 1.0
	v_mul_f32_e32 v13, 0x4f800000, v5
	v_cmp_gt_f32_e32 vcc, s28, v5
	s_nop 1
	v_cndmask_b32_e32 v5, v5, v13, vcc
	v_sqrt_f32_e32 v13, v5
	s_nop 0
	v_add_u32_e32 v27, -1, v13
	v_fma_f32 v32, -v27, v13, v5
	v_cmp_ge_f32_e64 s[0:1], 0, v32
	v_add_u32_e32 v32, 1, v13
	s_nop 0
	v_cndmask_b32_e64 v27, v13, v27, s[0:1]
	v_fma_f32 v13, -v32, v13, v5
	v_cmp_lt_f32_e64 s[0:1], 0, v13
	s_nop 1
	v_cndmask_b32_e64 v13, v27, v32, s[0:1]
	v_mul_f32_e32 v27, 0x37800000, v13
	v_cndmask_b32_e32 v13, v13, v27, vcc
	v_cmp_class_f32_e32 vcc, v5, v52
	s_nop 1
	v_cndmask_b32_e32 v5, v13, v5, vcc
	v_mul_f32_e32 v5, v26, v5
.LBB8_7:                                ;   in Loop: Header=BB8_4 Depth=1
	s_or_b64 exec, exec, s[24:25]
                                        ; implicit-def: $vgpr13
                                        ; implicit-def: $vgpr26
.LBB8_8:                                ;   in Loop: Header=BB8_4 Depth=1
	s_andn2_saveexec_b64 s[22:23], s[22:23]
	s_cbranch_execz .LBB8_10
; %bb.9:                                ;   in Loop: Header=BB8_4 Depth=1
	v_div_scale_f32 v5, s[0:1], v13, v13, v26
	v_rcp_f32_e32 v27, v5
	v_div_scale_f32 v32, vcc, v26, v13, v26
	v_fma_f32 v33, -v5, v27, 1.0
	v_fmac_f32_e32 v27, v33, v27
	v_mul_f32_e32 v33, v32, v27
	v_fma_f32 v40, -v5, v33, v32
	v_fmac_f32_e32 v33, v40, v27
	v_fma_f32 v5, -v5, v33, v32
	v_div_fmas_f32 v5, v5, v27, v33
	v_div_fixup_f32 v5, v5, v13, v26
	v_fma_f32 v5, v5, v5, 1.0
	v_mul_f32_e32 v26, 0x4f800000, v5
	v_cmp_gt_f32_e32 vcc, s28, v5
	s_nop 1
	v_cndmask_b32_e32 v5, v5, v26, vcc
	v_sqrt_f32_e32 v26, v5
	s_nop 0
	v_add_u32_e32 v27, -1, v26
	v_fma_f32 v32, -v27, v26, v5
	v_cmp_ge_f32_e64 s[0:1], 0, v32
	v_add_u32_e32 v32, 1, v26
	s_nop 0
	v_cndmask_b32_e64 v27, v26, v27, s[0:1]
	v_fma_f32 v26, -v32, v26, v5
	v_cmp_lt_f32_e64 s[0:1], 0, v26
	s_nop 1
	v_cndmask_b32_e64 v26, v27, v32, s[0:1]
	v_mul_f32_e32 v27, 0x37800000, v26
	v_cndmask_b32_e32 v26, v26, v27, vcc
	v_cmp_class_f32_e32 vcc, v5, v52
	s_nop 1
	v_cndmask_b32_e32 v5, v26, v5, vcc
	v_mul_f32_e32 v5, v13, v5
.LBB8_10:                               ;   in Loop: Header=BB8_4 Depth=1
	s_or_b64 exec, exec, s[22:23]
	v_lshl_add_u64 v[40:41], v[14:15], 3, s[2:3]
	v_lshl_add_u64 v[14:15], v[2:3], 3, s[2:3]
	global_load_dwordx2 v[50:51], v[40:41], off
	global_load_dwordx2 v[54:55], v[14:15], off
	v_mul_f32_e32 v3, 0x4f800000, v5
	v_cmp_gt_f32_e32 vcc, s28, v5
	v_mul_f32_e32 v13, 0x80000000, v21
	v_mul_f32_e32 v53, 0x80000000, v20
	v_cndmask_b32_e32 v3, v5, v3, vcc
	v_sqrt_f32_e32 v5, v3
	v_mul_f32_e32 v58, 0x80000000, v18
	v_add_u32_e32 v26, -1, v5
	v_add_u32_e32 v27, 1, v5
	v_fma_f32 v32, -v26, v5, v3
	v_fma_f32 v33, -v27, v5, v3
	v_cmp_ge_f32_e64 s[0:1], 0, v32
	s_nop 1
	v_cndmask_b32_e64 v5, v5, v26, s[0:1]
	v_cmp_lt_f32_e64 s[0:1], 0, v33
	s_nop 1
	v_cndmask_b32_e64 v5, v5, v27, s[0:1]
	v_mul_f32_e32 v26, 0x37800000, v5
	v_cndmask_b32_e32 v5, v5, v26, vcc
	v_cmp_class_f32_e32 vcc, v3, v52
	v_xor_b32_e32 v26, 0x80000000, v21
	s_nop 0
	v_cndmask_b32_e32 v3, v5, v3, vcc
	v_fma_f32 v5, v3, v3, 0
	v_div_scale_f32 v27, s[0:1], v5, v5, 1.0
	v_rcp_f32_e32 v32, v27
	v_div_scale_f32 v33, vcc, 1.0, v5, 1.0
	v_fmac_f32_e32 v13, v20, v3
	v_fma_f32 v56, -v27, v32, 1.0
	v_fmac_f32_e32 v32, v56, v32
	v_mul_f32_e32 v56, v33, v32
	v_fma_f32 v57, -v27, v56, v33
	v_fmac_f32_e32 v56, v57, v32
	v_fma_f32 v27, -v27, v56, v33
	v_mul_f32_e32 v57, 0x80000000, v19
	v_div_fmas_f32 v56, v27, v32, v56
	v_fma_f32 v53, -v21, v3, v53
	v_fmac_f32_e32 v57, v18, v3
	v_fma_f32 v3, -v19, v3, v58
	v_div_fixup_f32 v5, v56, v5, 1.0
	v_xor_b32_e32 v32, 0x80000000, v19
	v_mov_b32_e32 v33, v18
	v_mul_f32_e32 v58, v3, v5
	v_mul_f32_e32 v56, v57, v5
	v_pk_mul_f32 v[32:33], v[58:59], v[32:33] op_sel_hi:[0,1]
	v_pk_fma_f32 v[18:19], v[18:19], v[56:57], v[32:33] op_sel_hi:[1,0,1]
	v_mul_f32_e32 v60, v13, v5
	v_mov_b32_e32 v27, v20
	v_pk_fma_f32 v[18:19], v[20:21], v[60:61], v[18:19] op_sel_hi:[1,0,1]
	s_waitcnt vmcnt(8)
	v_xor_b32_e32 v20, 0x80000000, v25
	v_mov_b32_e32 v21, v24
	v_mul_f32_e32 v62, v53, v5
	v_pk_mul_f32 v[20:21], v[58:59], v[20:21] op_sel_hi:[0,1]
	v_pk_fma_f32 v[32:33], v[26:27], v[62:63], v[18:19] op_sel_hi:[1,0,1]
	s_waitcnt vmcnt(7)
	v_pk_add_f32 v[18:19], v[28:29], 0 neg_lo:[1,1] neg_hi:[1,1]
	v_pk_fma_f32 v[20:21], v[24:25], v[56:57], v[20:21] op_sel_hi:[1,0,1]
	v_pk_mov_b32 v[18:19], v[18:19], v[28:29] op_sel:[1,0]
	v_pk_fma_f32 v[20:21], v[28:29], v[60:61], v[20:21] op_sel_hi:[1,0,1]
	global_store_dwordx2 v[16:17], v[32:33], off
	v_pk_fma_f32 v[26:27], v[18:19], v[62:63], v[20:21] op_sel_hi:[1,0,1]
	v_ashrrev_i32_e32 v13, 31, v12
	v_ashrrev_i32_e32 v5, 31, v4
	v_mul_f32_e32 v3, v33, v33
	v_fmac_f32_e32 v3, v32, v32
	s_waitcnt vmcnt(2)
	v_pk_mul_f32 v[16:17], v[58:59], v[50:51] op_sel:[0,1] op_sel_hi:[0,0] neg_lo:[0,1]
	v_pk_mul_f32 v[18:19], v[62:63], v[50:51] op_sel_hi:[0,1] neg_lo:[1,0]
	s_waitcnt vmcnt(1)
	v_pk_mov_b32 v[20:21], v[54:55], v[54:55] op_sel:[1,0]
	v_pk_fma_f32 v[16:17], v[50:51], v[56:57], v[16:17] op_sel_hi:[1,0,1]
	v_pk_fma_f32 v[18:19], v[50:51], v[60:61], v[18:19] op_sel:[0,0,1] op_sel_hi:[1,0,0]
	v_pk_add_f32 v[20:21], v[20:21], 0 neg_lo:[1,1] neg_hi:[1,1]
	v_pk_fma_f32 v[16:17], v[54:55], v[60:61], v[16:17] op_sel_hi:[1,0,1]
	v_mov_b32_e32 v21, v54
	v_pk_fma_f32 v[18:19], v[54:55], v[56:57], v[18:19] op_sel_hi:[1,0,1] neg_lo:[1,0,0] neg_hi:[1,0,0]
	v_pk_fma_f32 v[20:21], v[20:21], v[62:63], v[16:17] op_sel_hi:[1,0,1]
	v_add_u32_e32 v16, s13, v4
	v_pk_fma_f32 v[50:51], v[54:55], v[58:59], v[18:19] op_sel:[1,0,0] op_sel_hi:[0,0,1] neg_lo:[0,1,0]
	v_xor_b32_e32 v18, 0x80000000, v43
	v_mov_b32_e32 v19, v42
	v_ashrrev_i32_e32 v17, 31, v16
	v_pk_mul_f32 v[18:19], v[58:59], v[18:19] op_sel_hi:[0,1]
	global_store_dwordx2 v[14:15], v[20:21], off
	v_lshl_add_u64 v[20:21], v[16:17], 3, s[16:17]
	v_pk_fma_f32 v[18:19], v[42:43], v[56:57], v[18:19] op_sel_hi:[1,0,1]
	global_store_dwordx2 v[20:21], v[18:19], off
	global_store_dwordx2 v[40:41], v[50:51], off
	v_xor_b32_e32 v40, 0x80000000, v47
	v_mov_b32_e32 v41, v46
	v_pk_mul_f32 v[40:41], v[58:59], v[40:41] op_sel_hi:[0,1]
	v_pk_fma_f32 v[40:41], v[46:47], v[56:57], v[40:41] op_sel_hi:[1,0,1]
	v_pk_add_f32 v[50:51], v[48:49], 0 neg_lo:[1,1] neg_hi:[1,1]
	v_pk_fma_f32 v[40:41], v[48:49], v[60:61], v[40:41] op_sel_hi:[1,0,1]
	v_pk_mov_b32 v[50:51], v[50:51], v[48:49] op_sel:[1,0]
	v_mul_f32_e64 v17, v32, -v33
	v_pk_fma_f32 v[40:41], v[50:51], v[62:63], v[40:41] op_sel_hi:[1,0,1]
	v_pk_mul_f32 v[50:51], v[62:63], v[46:47] op_sel_hi:[0,1] neg_lo:[1,0]
	v_pk_fma_f32 v[46:47], v[46:47], v[60:61], v[50:51] op_sel:[0,0,1] op_sel_hi:[1,0,0]
	v_lshlrev_b64 v[50:51], 3, v[12:13]
	v_pk_fma_f32 v[46:47], v[48:49], v[56:57], v[46:47] op_sel_hi:[1,0,1] neg_lo:[1,0,0] neg_hi:[1,0,0]
	v_fmac_f32_e32 v17, v33, v32
	v_pk_fma_f32 v[48:49], v[48:49], v[58:59], v[46:47] op_sel:[1,0,0] op_sel_hi:[0,0,1] neg_lo:[0,1,0]
	global_store_dwordx2 v[10:11], v[26:27], off
	global_store_dwordx2 v[44:45], v[48:49], off
	v_xor_b32_e32 v44, 0x80000000, v35
	v_mov_b32_e32 v45, v34
	v_pk_mul_f32 v[44:45], v[58:59], v[44:45] op_sel_hi:[0,1]
	v_pk_fma_f32 v[44:45], v[34:35], v[56:57], v[44:45] op_sel_hi:[1,0,1]
	v_pk_add_f32 v[48:49], v[36:37], 0 neg_lo:[1,1] neg_hi:[1,1]
	v_pk_fma_f32 v[44:45], v[36:37], v[60:61], v[44:45] op_sel_hi:[1,0,1]
	v_pk_mov_b32 v[48:49], v[48:49], v[36:37] op_sel:[1,0]
	v_lshl_add_u64 v[46:47], s[6:7], 0, v[50:51]
	v_pk_fma_f32 v[44:45], v[48:49], v[62:63], v[44:45] op_sel_hi:[1,0,1]
	v_pk_mul_f32 v[48:49], v[62:63], v[42:43] op_sel_hi:[0,1] neg_lo:[1,0]
	v_pk_fma_f32 v[54:55], v[42:43], v[60:61], v[48:49] op_sel:[0,0,1] op_sel_hi:[1,0,0]
	global_store_dwordx2 v[8:9], v[40:41], off
	global_store_dwordx2 v[6:7], v[44:45], off
	;; [unrolled: 1-line block ×3, first 2 shown]
	v_pk_mul_f32 v[38:39], v[62:63], v[34:35] op_sel_hi:[0,1] neg_lo:[1,0]
	v_lshl_add_u64 v[48:49], s[8:9], 0, v[50:51]
	v_lshl_add_u64 v[42:43], s[10:11], 0, v[50:51]
	global_load_dwordx2 v[50:51], v[46:47], off
	v_pk_fma_f32 v[38:39], v[34:35], v[60:61], v[38:39] op_sel:[0,0,1] op_sel_hi:[1,0,0]
	v_lshl_add_u64 v[34:35], v[4:5], 3, s[16:17]
	v_pk_fma_f32 v[38:39], v[36:37], v[56:57], v[38:39] op_sel_hi:[1,0,1] neg_lo:[1,0,0] neg_hi:[1,0,0]
	v_pk_mul_f32 v[54:55], v[62:63], v[24:25] op_sel_hi:[0,1] neg_lo:[1,0]
	v_pk_fma_f32 v[36:37], v[36:37], v[58:59], v[38:39] op_sel:[1,0,0] op_sel_hi:[0,0,1] neg_lo:[0,1,0]
	global_store_dwordx2 v[30:31], v[36:37], off
	global_load_dwordx2 v[38:39], v[48:49], off
	s_nop 0
	global_load_dwordx2 v[36:37], v[42:43], off
	global_load_dwordx2 v[30:31], v[34:35], off
	v_pk_fma_f32 v[24:25], v[24:25], v[60:61], v[54:55] op_sel:[0,0,1] op_sel_hi:[1,0,0]
	s_waitcnt vmcnt(4)
	v_fmac_f32_e32 v17, v51, v50
	v_pk_fma_f32 v[24:25], v[28:29], v[56:57], v[24:25] op_sel_hi:[1,0,1] neg_lo:[1,0,0] neg_hi:[1,0,0]
	v_fmac_f32_e32 v3, v50, v50
	v_pk_fma_f32 v[24:25], v[28:29], v[58:59], v[24:25] op_sel:[1,0,0] op_sel_hi:[0,0,1] neg_lo:[0,1,0]
	global_store_dwordx2 v[22:23], v[24:25], off
	v_fma_f32 v23, v50, -v51, v17
	v_cmp_gt_f32_e32 vcc, 0, v23
	v_fmac_f32_e32 v3, v51, v51
                                        ; implicit-def: $vgpr22
	s_nop 0
	v_cndmask_b32_e64 v17, v23, -v23, vcc
	v_cmp_ngt_f32_e32 vcc, v3, v17
	s_and_saveexec_b64 s[0:1], vcc
	s_xor_b64 s[22:23], exec, s[0:1]
	s_cbranch_execz .LBB8_14
; %bb.11:                               ;   in Loop: Header=BB8_4 Depth=1
	v_mov_b32_e32 v22, 0
	v_cmp_neq_f32_e32 vcc, 0, v23
	s_and_saveexec_b64 s[24:25], vcc
	s_cbranch_execz .LBB8_13
; %bb.12:                               ;   in Loop: Header=BB8_4 Depth=1
	v_div_scale_f32 v22, s[0:1], v17, v17, v3
	v_rcp_f32_e32 v23, v22
	v_div_scale_f32 v24, vcc, v3, v17, v3
	v_fma_f32 v25, -v22, v23, 1.0
	v_fmac_f32_e32 v23, v25, v23
	v_mul_f32_e32 v25, v24, v23
	v_fma_f32 v28, -v22, v25, v24
	v_fmac_f32_e32 v25, v28, v23
	v_fma_f32 v22, -v22, v25, v24
	v_div_fmas_f32 v22, v22, v23, v25
	v_div_fixup_f32 v3, v22, v17, v3
	v_fma_f32 v3, v3, v3, 1.0
	v_mul_f32_e32 v22, 0x4f800000, v3
	v_cmp_gt_f32_e32 vcc, s28, v3
	s_nop 1
	v_cndmask_b32_e32 v3, v3, v22, vcc
	v_sqrt_f32_e32 v22, v3
	s_nop 0
	v_add_u32_e32 v23, -1, v22
	v_fma_f32 v24, -v23, v22, v3
	v_cmp_ge_f32_e64 s[0:1], 0, v24
	v_add_u32_e32 v24, 1, v22
	s_nop 0
	v_cndmask_b32_e64 v23, v22, v23, s[0:1]
	v_fma_f32 v22, -v24, v22, v3
	v_cmp_lt_f32_e64 s[0:1], 0, v22
	s_nop 1
	v_cndmask_b32_e64 v22, v23, v24, s[0:1]
	v_mul_f32_e32 v23, 0x37800000, v22
	v_cndmask_b32_e32 v22, v22, v23, vcc
	v_cmp_class_f32_e32 vcc, v3, v52
	s_nop 1
	v_cndmask_b32_e32 v3, v22, v3, vcc
	v_mul_f32_e32 v22, v17, v3
.LBB8_13:                               ;   in Loop: Header=BB8_4 Depth=1
	s_or_b64 exec, exec, s[24:25]
                                        ; implicit-def: $vgpr3
                                        ; implicit-def: $vgpr17
.LBB8_14:                               ;   in Loop: Header=BB8_4 Depth=1
	s_andn2_saveexec_b64 s[22:23], s[22:23]
	s_cbranch_execz .LBB8_3
; %bb.15:                               ;   in Loop: Header=BB8_4 Depth=1
	v_div_scale_f32 v22, s[0:1], v3, v3, v17
	v_rcp_f32_e32 v23, v22
	v_div_scale_f32 v24, vcc, v17, v3, v17
	v_fma_f32 v25, -v22, v23, 1.0
	v_fmac_f32_e32 v23, v25, v23
	v_mul_f32_e32 v25, v24, v23
	v_fma_f32 v28, -v22, v25, v24
	v_fmac_f32_e32 v25, v28, v23
	v_fma_f32 v22, -v22, v25, v24
	v_div_fmas_f32 v22, v22, v23, v25
	v_div_fixup_f32 v17, v22, v3, v17
	v_fma_f32 v17, v17, v17, 1.0
	v_mul_f32_e32 v22, 0x4f800000, v17
	v_cmp_gt_f32_e32 vcc, s28, v17
	s_nop 1
	v_cndmask_b32_e32 v17, v17, v22, vcc
	v_sqrt_f32_e32 v22, v17
	s_nop 0
	v_add_u32_e32 v23, -1, v22
	v_fma_f32 v24, -v23, v22, v17
	v_cmp_ge_f32_e64 s[0:1], 0, v24
	v_add_u32_e32 v24, 1, v22
	s_nop 0
	v_cndmask_b32_e64 v23, v22, v23, s[0:1]
	v_fma_f32 v22, -v24, v22, v17
	v_cmp_lt_f32_e64 s[0:1], 0, v22
	s_nop 1
	v_cndmask_b32_e64 v22, v23, v24, s[0:1]
	v_mul_f32_e32 v23, 0x37800000, v22
	v_cndmask_b32_e32 v22, v22, v23, vcc
	v_cmp_class_f32_e32 vcc, v17, v52
	s_nop 1
	v_cndmask_b32_e32 v17, v22, v17, vcc
	v_mul_f32_e32 v22, v3, v17
	s_branch .LBB8_3
.LBB8_16:
	s_add_i32 s0, s12, -1
	s_mul_i32 s22, s14, s0
	v_add_u32_e32 v36, s22, v1
	v_ashrrev_i32_e32 v37, 31, v36
	v_lshlrev_b64 v[2:3], 3, v[36:37]
	s_sub_i32 s23, s22, s14
	s_waitcnt lgkmcnt(0)
	v_lshl_add_u64 v[4:5], s[4:5], 0, v[2:3]
	v_add_u32_e32 v32, s23, v1
	v_ashrrev_i32_e32 v33, 31, v32
	global_load_dwordx2 v[40:41], v[4:5], off
	v_lshlrev_b64 v[6:7], 3, v[32:33]
	s_mul_i32 s0, s13, s26
	v_lshl_add_u64 v[24:25], s[6:7], 0, v[6:7]
	v_lshl_add_u64 v[28:29], s[6:7], 0, v[2:3]
	;; [unrolled: 1-line block ×4, first 2 shown]
	v_add_u32_e32 v2, s0, v1
	global_load_dwordx2 v[38:39], v[24:25], off
	global_load_dwordx2 v[42:43], v[28:29], off
	v_ashrrev_i32_e32 v3, 31, v2
	v_add_u32_e32 v14, s13, v2
	v_lshl_add_u64 v[26:27], s[8:9], 0, v[6:7]
	v_lshl_add_u64 v[16:17], s[10:11], 0, v[6:7]
	;; [unrolled: 1-line block ×3, first 2 shown]
	v_ashrrev_i32_e32 v15, 31, v14
	global_load_dwordx2 v[34:35], v[26:27], off
	global_load_dwordx2 v[20:21], v[30:31], off
	v_lshl_add_u64 v[8:9], v[14:15], 3, s[16:17]
	global_load_dwordx2 v[10:11], v[6:7], off
	global_load_dwordx2 v[4:5], v[8:9], off
	;; [unrolled: 1-line block ×4, first 2 shown]
	s_waitcnt vmcnt(8)
	v_mul_f32_e64 v15, v40, -v41
	v_fmac_f32_e32 v15, v41, v40
	v_mul_f32_e32 v44, v41, v41
	v_fmac_f32_e32 v44, v40, v40
	s_waitcnt vmcnt(7)
	v_fmac_f32_e32 v15, v39, v38
	v_fma_f32 v46, v38, -v39, v15
	v_fmac_f32_e32 v44, v38, v38
	v_cmp_gt_f32_e32 vcc, 0, v46
	v_fmac_f32_e32 v44, v39, v39
                                        ; implicit-def: $vgpr15
	s_nop 0
	v_cndmask_b32_e64 v45, v46, -v46, vcc
	v_cmp_ngt_f32_e32 vcc, v44, v45
	s_and_saveexec_b64 s[0:1], vcc
	s_xor_b64 s[4:5], exec, s[0:1]
	s_cbranch_execz .LBB8_20
; %bb.17:
	v_mov_b32_e32 v15, 0
	v_cmp_neq_f32_e32 vcc, 0, v46
	s_and_saveexec_b64 s[20:21], vcc
	s_cbranch_execz .LBB8_19
; %bb.18:
	v_div_scale_f32 v15, s[0:1], v45, v45, v44
	v_rcp_f32_e32 v46, v15
	v_div_scale_f32 v47, vcc, v44, v45, v44
	s_mov_b32 s0, 0xf800000
	v_fma_f32 v48, -v15, v46, 1.0
	v_fmac_f32_e32 v46, v48, v46
	v_mul_f32_e32 v48, v47, v46
	v_fma_f32 v49, -v15, v48, v47
	v_fmac_f32_e32 v48, v49, v46
	v_fma_f32 v15, -v15, v48, v47
	v_div_fmas_f32 v15, v15, v46, v48
	v_div_fixup_f32 v15, v15, v45, v44
	v_fma_f32 v15, v15, v15, 1.0
	v_mul_f32_e32 v44, 0x4f800000, v15
	v_cmp_gt_f32_e32 vcc, s0, v15
	s_nop 1
	v_cndmask_b32_e32 v15, v15, v44, vcc
	v_sqrt_f32_e32 v44, v15
	s_nop 0
	v_add_u32_e32 v46, -1, v44
	v_fma_f32 v47, -v46, v44, v15
	v_cmp_ge_f32_e64 s[0:1], 0, v47
	v_add_u32_e32 v47, 1, v44
	s_nop 0
	v_cndmask_b32_e64 v46, v44, v46, s[0:1]
	v_fma_f32 v44, -v47, v44, v15
	v_cmp_lt_f32_e64 s[0:1], 0, v44
	s_nop 1
	v_cndmask_b32_e64 v44, v46, v47, s[0:1]
	v_mul_f32_e32 v46, 0x37800000, v44
	v_cndmask_b32_e32 v44, v44, v46, vcc
	v_mov_b32_e32 v46, 0x260
	v_cmp_class_f32_e32 vcc, v15, v46
	s_nop 1
	v_cndmask_b32_e32 v15, v44, v15, vcc
	v_mul_f32_e32 v15, v45, v15
.LBB8_19:
	s_or_b64 exec, exec, s[20:21]
                                        ; implicit-def: $vgpr44
                                        ; implicit-def: $vgpr45
.LBB8_20:
	s_andn2_saveexec_b64 s[4:5], s[4:5]
	s_cbranch_execz .LBB8_22
; %bb.21:
	v_div_scale_f32 v15, s[0:1], v44, v44, v45
	v_rcp_f32_e32 v46, v15
	v_div_scale_f32 v47, vcc, v45, v44, v45
	s_mov_b32 s0, 0xf800000
	v_fma_f32 v48, -v15, v46, 1.0
	v_fmac_f32_e32 v46, v48, v46
	v_mul_f32_e32 v48, v47, v46
	v_fma_f32 v49, -v15, v48, v47
	v_fmac_f32_e32 v48, v49, v46
	v_fma_f32 v15, -v15, v48, v47
	v_div_fmas_f32 v15, v15, v46, v48
	v_div_fixup_f32 v15, v15, v44, v45
	v_fma_f32 v15, v15, v15, 1.0
	v_mul_f32_e32 v45, 0x4f800000, v15
	v_cmp_gt_f32_e32 vcc, s0, v15
	s_nop 1
	v_cndmask_b32_e32 v15, v15, v45, vcc
	v_sqrt_f32_e32 v45, v15
	s_nop 0
	v_add_u32_e32 v46, -1, v45
	v_fma_f32 v47, -v46, v45, v15
	v_cmp_ge_f32_e64 s[0:1], 0, v47
	v_add_u32_e32 v47, 1, v45
	s_nop 0
	v_cndmask_b32_e64 v46, v45, v46, s[0:1]
	v_fma_f32 v45, -v47, v45, v15
	v_cmp_lt_f32_e64 s[0:1], 0, v45
	s_nop 1
	v_cndmask_b32_e64 v45, v46, v47, s[0:1]
	v_mul_f32_e32 v46, 0x37800000, v45
	v_cndmask_b32_e32 v45, v45, v46, vcc
	v_mov_b32_e32 v46, 0x260
	v_cmp_class_f32_e32 vcc, v15, v46
	s_nop 1
	v_cndmask_b32_e32 v15, v45, v15, vcc
	v_mul_f32_e32 v15, v44, v15
.LBB8_22:
	s_or_b64 exec, exec, s[4:5]
	v_lshl_add_u64 v[32:33], v[32:33], 3, s[2:3]
	v_lshl_add_u64 v[36:37], v[36:37], 3, s[2:3]
	global_load_dwordx2 v[52:53], v[32:33], off
	global_load_dwordx2 v[54:55], v[36:37], off
	s_mov_b32 s0, 0xf800000
	v_mul_f32_e32 v44, 0x4f800000, v15
	v_cmp_gt_f32_e32 vcc, s0, v15
	v_mov_b32_e32 v45, 0x260
	v_mul_f32_e32 v47, 0x80000000, v38
	v_cndmask_b32_e32 v15, v15, v44, vcc
	v_sqrt_f32_e32 v44, v15
	v_mul_f32_e32 v46, 0x80000000, v39
	v_mul_f32_e32 v49, 0x80000000, v41
	;; [unrolled: 1-line block ×3, first 2 shown]
	v_add_u32_e32 v50, -1, v44
	v_add_u32_e32 v51, 1, v44
	v_fma_f32 v58, -v50, v44, v15
	v_fma_f32 v59, -v51, v44, v15
	v_cmp_ge_f32_e64 s[0:1], 0, v58
	v_xor_b32_e32 v56, 0x80000000, v41
	v_mov_b32_e32 v57, v40
	v_cndmask_b32_e64 v44, v44, v50, s[0:1]
	v_cmp_lt_f32_e64 s[0:1], 0, v59
	s_waitcnt vmcnt(8)
	v_mov_b32_e32 v59, v42
	s_sub_i32 s4, s23, s14
	v_cndmask_b32_e64 v44, v44, v51, s[0:1]
	v_mul_f32_e32 v50, 0x37800000, v44
	v_cndmask_b32_e32 v44, v44, v50, vcc
	v_cmp_class_f32_e32 vcc, v15, v45
	v_lshl_add_u64 v[2:3], v[2:3], 3, s[18:19]
	s_nop 0
	v_cndmask_b32_e32 v15, v44, v15, vcc
	v_fma_f32 v44, v15, v15, 0
	v_fma_f32 v45, -v39, v15, v47
	v_div_scale_f32 v47, s[0:1], v44, v44, 1.0
	v_rcp_f32_e32 v50, v47
	v_fmac_f32_e32 v46, v38, v15
	v_fmac_f32_e32 v49, v40, v15
	v_fma_f32 v15, -v41, v15, v48
	v_fma_f32 v51, -v47, v50, 1.0
	v_div_scale_f32 v48, vcc, 1.0, v44, 1.0
	v_fmac_f32_e32 v50, v51, v50
	v_mul_f32_e32 v51, v48, v50
	v_fma_f32 v58, -v47, v51, v48
	v_fmac_f32_e32 v51, v58, v50
	v_fma_f32 v47, -v47, v51, v48
	v_div_fmas_f32 v47, v47, v50, v51
	v_div_fixup_f32 v47, v47, v44, 1.0
	v_mul_f32_e32 v48, v46, v47
	v_mul_f32_e32 v46, v15, v47
	v_xor_b32_e32 v58, 0x80000000, v43
	v_mul_f32_e32 v50, v45, v47
	v_mul_f32_e32 v44, v49, v47
	v_pk_mul_f32 v[56:57], v[46:47], v[56:57] op_sel_hi:[0,1]
	v_pk_fma_f32 v[40:41], v[40:41], v[44:45], v[56:57] op_sel_hi:[1,0,1]
	v_pk_mul_f32 v[56:57], v[50:51], v[42:43] op_sel_hi:[0,1] neg_lo:[1,0]
	v_pk_mul_f32 v[58:59], v[46:47], v[58:59] op_sel_hi:[0,1]
	v_pk_fma_f32 v[56:57], v[42:43], v[48:49], v[56:57] op_sel:[0,0,1] op_sel_hi:[1,0,0]
	v_pk_fma_f32 v[42:43], v[42:43], v[44:45], v[58:59] op_sel_hi:[1,0,1]
	v_xor_b32_e32 v58, 0x80000000, v39
	v_mov_b32_e32 v59, v38
	v_pk_fma_f32 v[38:39], v[38:39], v[48:49], v[40:41] op_sel_hi:[1,0,1]
	s_waitcnt vmcnt(7)
	v_pk_mov_b32 v[40:41], v[34:35], v[34:35] op_sel:[1,0]
	v_pk_fma_f32 v[56:57], v[34:35], v[44:45], v[56:57] op_sel_hi:[1,0,1] neg_lo:[1,0,0] neg_hi:[1,0,0]
	v_pk_add_f32 v[40:41], v[40:41], 0 neg_lo:[1,1] neg_hi:[1,1]
	v_pk_fma_f32 v[38:39], v[58:59], v[50:51], v[38:39] op_sel_hi:[1,0,1]
	v_mov_b32_e32 v41, v34
	s_waitcnt vmcnt(6)
	v_pk_mul_f32 v[58:59], v[50:51], v[20:21] op_sel_hi:[0,1] neg_lo:[1,0]
	v_pk_fma_f32 v[42:43], v[34:35], v[48:49], v[42:43] op_sel_hi:[1,0,1]
	v_pk_fma_f32 v[34:35], v[34:35], v[46:47], v[56:57] op_sel:[1,0,0] op_sel_hi:[0,0,1] neg_lo:[0,1,0]
	v_pk_fma_f32 v[58:59], v[20:21], v[48:49], v[58:59] op_sel:[0,0,1] op_sel_hi:[1,0,0]
	v_mul_f32_e32 v15, v35, v35
	s_waitcnt vmcnt(3)
	v_pk_fma_f32 v[58:59], v[22:23], v[44:45], v[58:59] op_sel_hi:[1,0,1] neg_lo:[1,0,0] neg_hi:[1,0,0]
	v_pk_fma_f32 v[40:41], v[40:41], v[50:51], v[42:43] op_sel_hi:[1,0,1]
	v_fmac_f32_e32 v15, v34, v34
	v_pk_fma_f32 v[42:43], v[22:23], v[46:47], v[58:59] op_sel:[1,0,0] op_sel_hi:[0,0,1] neg_lo:[0,1,0]
	global_store_dwordx2 v[24:25], v[38:39], off
	global_store_dwordx2 v[28:29], v[34:35], off
	;; [unrolled: 1-line block ×4, first 2 shown]
	v_div_scale_f32 v40, s[0:1], v15, v15, 1.0
	v_rcp_f32_e32 v41, v40
	s_waitcnt vmcnt(5)
	v_pk_mov_b32 v[28:29], v[52:53], v[52:53] op_sel:[1,0]
	s_waitcnt vmcnt(4)
	v_pk_mul_f32 v[30:31], v[46:47], v[54:55] op_sel:[0,1] op_sel_hi:[0,0] neg_lo:[0,1]
	v_pk_fma_f32 v[30:31], v[54:55], v[44:45], v[30:31] op_sel_hi:[1,0,1]
	v_pk_add_f32 v[28:29], v[28:29], 0 neg_lo:[1,1] neg_hi:[1,1]
	v_pk_fma_f32 v[30:31], v[52:53], v[48:49], v[30:31] op_sel_hi:[1,0,1]
	v_mov_b32_e32 v29, v52
	v_pk_fma_f32 v[28:29], v[28:29], v[50:51], v[30:31] op_sel_hi:[1,0,1]
	global_store_dwordx2 v[32:33], v[28:29], off
	v_pk_mul_f32 v[28:29], v[50:51], v[54:55] op_sel_hi:[0,1] neg_lo:[1,0]
	global_load_dwordx2 v[30:31], v[24:25], off
	global_load_dwordx2 v[38:39], v[26:27], off
	v_fma_f32 v26, -v40, v41, 1.0
	v_pk_fma_f32 v[28:29], v[54:55], v[48:49], v[28:29] op_sel:[0,0,1] op_sel_hi:[1,0,0]
	v_fmac_f32_e32 v41, v26, v41
	v_div_scale_f32 v26, vcc, 1.0, v15, 1.0
	v_pk_fma_f32 v[28:29], v[52:53], v[44:45], v[28:29] op_sel_hi:[1,0,1] neg_lo:[1,0,0] neg_hi:[1,0,0]
	v_mul_f32_e32 v27, v26, v41
	v_pk_fma_f32 v[24:25], v[52:53], v[46:47], v[28:29] op_sel:[1,0,0] op_sel_hi:[0,0,1] neg_lo:[0,1,0]
	v_fma_f32 v28, -v40, v27, v26
	v_fmac_f32_e32 v27, v28, v41
	v_fma_f32 v26, -v40, v27, v26
	v_xor_b32_e32 v29, 0x80000000, v24
	v_mov_b32_e32 v28, v25
	v_div_fmas_f32 v26, v26, v41, v27
	v_pk_mul_f32 v[28:29], v[34:35], v[28:29] op_sel:[1,0]
	v_div_fixup_f32 v26, v26, v15, 1.0
	v_pk_fma_f32 v[24:25], v[24:25], v[34:35], v[28:29] op_sel_hi:[1,0,1]
	v_xor_b32_e32 v34, 0x80000000, v21
	v_pk_mul_f32 v[24:25], v[26:27], v[24:25] op_sel_hi:[0,1]
	global_store_dwordx2 v[36:37], v[24:25], off
	global_load_dwordx2 v[26:27], v[32:33], off
	v_mov_b32_e32 v35, v20
	v_pk_mov_b32 v[28:29], v[22:23], v[22:23] op_sel:[1,0]
	v_pk_mul_f32 v[34:35], v[46:47], v[34:35] op_sel_hi:[0,1]
	v_pk_add_f32 v[28:29], v[28:29], 0 neg_lo:[1,1] neg_hi:[1,1]
	v_pk_fma_f32 v[20:21], v[20:21], v[44:45], v[34:35] op_sel_hi:[1,0,1]
	v_mov_b32_e32 v29, v22
	v_pk_mul_f32 v[56:57], v[50:51], v[12:13] op_sel_hi:[0,1] neg_lo:[1,0]
	v_pk_fma_f32 v[20:21], v[22:23], v[48:49], v[20:21] op_sel_hi:[1,0,1]
	v_pk_fma_f32 v[34:35], v[12:13], v[48:49], v[56:57] op_sel:[0,0,1] op_sel_hi:[1,0,0]
	v_pk_fma_f32 v[20:21], v[28:29], v[50:51], v[20:21] op_sel_hi:[1,0,1]
	v_pk_fma_f32 v[22:23], v[10:11], v[44:45], v[34:35] op_sel_hi:[1,0,1] neg_lo:[1,0,0] neg_hi:[1,0,0]
	v_add_u32_e32 v40, s4, v1
	v_pk_fma_f32 v[22:23], v[10:11], v[46:47], v[22:23] op_sel:[1,0,0] op_sel_hi:[0,0,1] neg_lo:[0,1,0]
	v_ashrrev_i32_e32 v41, 31, v40
	global_store_dwordx2 v[16:17], v[20:21], off
	global_store_dwordx2 v[18:19], v[22:23], off
	v_lshlrev_b64 v[40:41], 3, v[40:41]
	v_lshl_add_u64 v[52:53], s[8:9], 0, v[40:41]
	v_lshl_add_u64 v[42:43], s[2:3], 0, v[40:41]
	;; [unrolled: 1-line block ×4, first 2 shown]
	global_load_dwordx2 v[16:17], v[52:53], off
	global_load_dwordx2 v[18:19], v[54:55], off
	;; [unrolled: 1-line block ×3, first 2 shown]
	v_pk_mul_f32 v[54:55], v[50:51], v[4:5] op_sel_hi:[0,1] neg_lo:[1,0]
	s_waitcnt vmcnt(8)
	v_mul_f32_e32 v15, v31, v31
	v_fmac_f32_e32 v15, v30, v30
	v_div_scale_f32 v28, s[0:1], v15, v15, 1.0
	v_rcp_f32_e32 v29, v28
	s_waitcnt vmcnt(7)
	v_xor_b32_e32 v22, 0x80000000, v39
	v_mov_b32_e32 v23, v38
	v_pk_mul_f32 v[22:23], v[24:25], v[22:23] op_sel:[1,0]
	v_div_scale_f32 v34, vcc, 1.0, v15, 1.0
	v_pk_fma_f32 v[22:23], v[38:39], v[24:25], v[22:23] op_sel_hi:[1,0,1]
	v_fma_f32 v24, -v28, v29, 1.0
	v_fmac_f32_e32 v29, v24, v29
	v_mul_f32_e32 v24, v34, v29
	v_fma_f32 v25, -v28, v24, v34
	v_fmac_f32_e32 v24, v25, v29
	v_fma_f32 v25, -v28, v24, v34
	v_div_fmas_f32 v24, v25, v29, v24
	v_div_fixup_f32 v24, v24, v15, 1.0
	v_mad_u64_u32 v[14:15], s[0:1], s13, -3, v[14:15]
	v_pk_mov_b32 v[28:29], v[10:11], v[10:11] op_sel:[1,0]
	s_waitcnt vmcnt(5)
	v_pk_add_f32 v[22:23], v[26:27], v[22:23] neg_lo:[0,1] neg_hi:[0,1]
	s_sub_i32 s0, s4, s14
	v_xor_b32_e32 v27, 0x80000000, v22
	v_mov_b32_e32 v26, v23
	v_pk_mul_f32 v[26:27], v[30:31], v[26:27] op_sel:[1,0]
	v_pk_add_f32 v[28:29], v[28:29], 0 neg_lo:[1,1] neg_hi:[1,1]
	v_pk_fma_f32 v[22:23], v[22:23], v[30:31], v[26:27] op_sel_hi:[1,0,1]
	v_xor_b32_e32 v30, 0x80000000, v13
	v_pk_mul_f32 v[22:23], v[24:25], v[22:23] op_sel_hi:[0,1]
	global_store_dwordx2 v[32:33], v[22:23], off
	global_load_dwordx2 v[24:25], v[42:43], off
	global_load_dwordx2 v[26:27], v[36:37], off
	v_mov_b32_e32 v31, v12
	v_pk_mul_f32 v[30:31], v[46:47], v[30:31] op_sel_hi:[0,1]
	v_add_u32_e32 v34, s0, v1
	v_pk_fma_f32 v[12:13], v[12:13], v[44:45], v[30:31] op_sel_hi:[1,0,1]
	v_mov_b32_e32 v29, v10
	v_ashrrev_i32_e32 v35, 31, v34
	v_pk_fma_f32 v[10:11], v[10:11], v[48:49], v[12:13] op_sel_hi:[1,0,1]
	v_lshlrev_b64 v[34:35], 3, v[34:35]
	v_pk_fma_f32 v[10:11], v[28:29], v[50:51], v[10:11] op_sel_hi:[1,0,1]
	v_ashrrev_i32_e32 v15, 31, v14
	s_waitcnt vmcnt(3)
	v_mul_f32_e32 v1, v21, v21
	v_lshl_add_u64 v[40:41], s[8:9], 0, v[34:35]
	v_pk_fma_f32 v[30:31], v[4:5], v[48:49], v[54:55] op_sel:[0,0,1] op_sel_hi:[1,0,0]
	global_store_dwordx2 v[6:7], v[10:11], off
	global_store_dwordx2 v[8:9], v[30:31], off
	v_fmac_f32_e32 v1, v20, v20
	v_lshl_add_u64 v[14:15], v[14:15], 3, s[16:17]
	v_lshl_add_u64 v[38:39], s[2:3], 0, v[34:35]
	;; [unrolled: 1-line block ×4, first 2 shown]
	global_load_dwordx2 v[6:7], v[40:41], off
	global_load_dwordx2 v[8:9], v[52:53], off
	;; [unrolled: 1-line block ×4, first 2 shown]
	v_div_scale_f32 v30, s[0:1], v1, v1, 1.0
	v_rcp_f32_e32 v31, v30
	v_xor_b32_e32 v14, 0x80000000, v17
	v_mov_b32_e32 v15, v16
	v_xor_b32_e32 v28, 0x80000000, v19
	v_fma_f32 v35, -v30, v31, 1.0
	v_mov_b32_e32 v29, v18
	v_div_scale_f32 v34, vcc, 1.0, v1, 1.0
	v_fmac_f32_e32 v31, v35, v31
	v_pk_mul_f32 v[14:15], v[22:23], v[14:15] op_sel:[1,0]
	v_mul_f32_e32 v35, v34, v31
	v_pk_fma_f32 v[14:15], v[16:17], v[22:23], v[14:15] op_sel_hi:[1,0,1]
	v_fma_f32 v40, -v30, v35, v34
	v_fmac_f32_e32 v35, v40, v31
	v_fma_f32 v30, -v30, v35, v34
	v_div_fmas_f32 v30, v30, v31, v35
	v_div_fixup_f32 v30, v30, v1, 1.0
	v_xor_b32_e32 v22, 0x80000000, v5
	v_mov_b32_e32 v23, v4
	v_pk_mul_f32 v[22:23], v[46:47], v[22:23] op_sel_hi:[0,1]
	v_pk_fma_f32 v[4:5], v[4:5], v[44:45], v[22:23] op_sel_hi:[1,0,1]
	s_cmp_lt_i32 s12, 5
	s_waitcnt vmcnt(7)
	v_pk_add_f32 v[14:15], v[24:25], v[14:15] neg_lo:[0,1] neg_hi:[0,1]
	s_waitcnt vmcnt(6)
	v_pk_mul_f32 v[16:17], v[26:27], v[28:29] op_sel:[1,0]
	s_waitcnt vmcnt(0)
	v_mul_f32_e32 v1, v13, v13
	v_pk_fma_f32 v[16:17], v[18:19], v[26:27], v[16:17] op_sel_hi:[1,0,1]
	v_fmac_f32_e32 v1, v12, v12
	v_pk_add_f32 v[14:15], v[14:15], v[16:17] neg_lo:[0,1] neg_hi:[0,1]
	v_div_scale_f32 v22, s[0:1], v1, v1, 1.0
	v_xor_b32_e32 v17, 0x80000000, v14
	v_mov_b32_e32 v16, v15
	v_pk_mul_f32 v[16:17], v[20:21], v[16:17] op_sel:[1,0]
	v_rcp_f32_e32 v23, v22
	v_pk_fma_f32 v[14:15], v[14:15], v[20:21], v[16:17] op_sel_hi:[1,0,1]
	v_div_scale_f32 v24, vcc, 1.0, v1, 1.0
	v_pk_mul_f32 v[14:15], v[30:31], v[14:15] op_sel_hi:[0,1]
	global_store_dwordx2 v[42:43], v[14:15], off
	global_load_dwordx2 v[16:17], v[38:39], off
	global_load_dwordx2 v[18:19], v[32:33], off
	;; [unrolled: 1-line block ×3, first 2 shown]
	v_fma_f32 v25, -v22, v23, 1.0
	v_fmac_f32_e32 v23, v25, v23
	v_mul_f32_e32 v25, v24, v23
	v_fma_f32 v26, -v22, v25, v24
	v_fmac_f32_e32 v25, v26, v23
	v_fma_f32 v22, -v22, v25, v24
	global_store_dwordx2 v[2:3], v[4:5], off
	v_xor_b32_e32 v2, 0x80000000, v9
	v_mov_b32_e32 v3, v8
	v_div_fmas_f32 v22, v22, v23, v25
	v_pk_mul_f32 v[24:25], v[14:15], v[6:7] op_sel:[1,1] op_sel_hi:[1,0] neg_lo:[0,1]
	v_xor_b32_e32 v4, 0x80000000, v11
	v_mov_b32_e32 v5, v10
	v_pk_fma_f32 v[6:7], v[6:7], v[14:15], v[24:25] op_sel_hi:[1,0,1]
	v_div_fixup_f32 v22, v22, v1, 1.0
	s_waitcnt vmcnt(3)
	v_pk_add_f32 v[6:7], v[16:17], v[6:7] neg_lo:[0,1] neg_hi:[0,1]
	s_waitcnt vmcnt(2)
	v_pk_mul_f32 v[2:3], v[18:19], v[2:3] op_sel:[1,0]
	s_waitcnt vmcnt(1)
	v_pk_mul_f32 v[4:5], v[20:21], v[4:5] op_sel:[1,0]
	v_pk_fma_f32 v[2:3], v[8:9], v[18:19], v[2:3] op_sel_hi:[1,0,1]
	v_pk_fma_f32 v[4:5], v[10:11], v[20:21], v[4:5] op_sel_hi:[1,0,1]
	v_pk_add_f32 v[2:3], v[6:7], v[2:3] neg_lo:[0,1] neg_hi:[0,1]
	s_nop 0
	v_pk_add_f32 v[2:3], v[2:3], v[4:5] neg_lo:[0,1] neg_hi:[0,1]
	s_nop 0
	v_xor_b32_e32 v5, 0x80000000, v2
	v_mov_b32_e32 v4, v3
	v_pk_mul_f32 v[4:5], v[12:13], v[4:5] op_sel:[1,0]
	s_nop 0
	v_pk_fma_f32 v[2:3], v[2:3], v[12:13], v[4:5] op_sel_hi:[1,0,1]
	s_nop 0
	v_pk_mul_f32 v[2:3], v[22:23], v[2:3] op_sel_hi:[0,1]
	global_store_dwordx2 v[38:39], v[2:3], off
	s_cbranch_scc1 .LBB8_25
; %bb.23:
	s_add_i32 s1, s12, -5
	s_add_i32 s0, s12, -4
	s_mul_i32 s4, s13, s1
	v_add_u32_e32 v1, s4, v0
	s_mul_i32 s4, s14, s0
	v_add_u32_e32 v2, s4, v0
	s_add_i32 s4, s12, -3
	s_mul_i32 s4, s14, s4
	v_add_u32_e32 v3, s4, v0
	s_mul_i32 s4, s14, s26
	s_mul_i32 s1, s14, s1
	v_add_u32_e32 v4, s4, v0
	v_add_u32_e32 v5, s22, v0
	;; [unrolled: 1-line block ×3, first 2 shown]
.LBB8_24:                               ; =>This Inner Loop Header: Depth=1
	v_add_u32_e32 v6, s15, v0
	v_add_u32_e32 v8, s15, v2
	;; [unrolled: 1-line block ×5, first 2 shown]
	v_ashrrev_i32_e32 v7, 31, v6
	v_ashrrev_i32_e32 v9, 31, v8
	v_ashrrev_i32_e32 v11, 31, v10
	v_add_u32_e32 v16, s15, v5
	v_ashrrev_i32_e32 v13, 31, v12
	v_ashrrev_i32_e32 v15, 31, v14
	v_lshlrev_b64 v[6:7], 3, v[6:7]
	v_lshl_add_u64 v[8:9], v[8:9], 3, s[2:3]
	v_lshl_add_u64 v[10:11], v[10:11], 3, s[2:3]
	v_ashrrev_i32_e32 v17, 31, v16
	v_lshlrev_b64 v[12:13], 3, v[12:13]
	v_lshl_add_u64 v[14:15], v[14:15], 3, s[2:3]
	v_lshl_add_u64 v[18:19], s[2:3], 0, v[6:7]
	;; [unrolled: 1-line block ×3, first 2 shown]
	global_load_dwordx2 v[8:9], v[8:9], off
	v_lshl_add_u64 v[22:23], s[10:11], 0, v[6:7]
	global_load_dwordx2 v[10:11], v[10:11], off
	v_lshl_add_u64 v[6:7], s[6:7], 0, v[6:7]
	v_lshl_add_u64 v[16:17], v[16:17], 3, s[2:3]
	;; [unrolled: 1-line block ×3, first 2 shown]
	global_load_dwordx2 v[14:15], v[14:15], off
	v_lshl_add_u64 v[12:13], s[18:19], 0, v[12:13]
	global_load_dwordx2 v[26:27], v[6:7], off
	global_load_dwordx2 v[28:29], v[20:21], off
	;; [unrolled: 1-line block ×7, first 2 shown]
	s_add_i32 s0, s0, -1
	v_subrev_u32_e32 v1, s13, v1
	v_subrev_u32_e32 v2, s14, v2
	;; [unrolled: 1-line block ×6, first 2 shown]
	s_cmp_lg_u32 s0, 0
	s_waitcnt vmcnt(6)
	v_mul_f32_e32 v22, v27, v27
	s_waitcnt vmcnt(5)
	v_xor_b32_e32 v6, 0x80000000, v29
	v_mov_b32_e32 v7, v28
	s_waitcnt vmcnt(4)
	v_pk_mul_f32 v[12:13], v[10:11], v[30:31] op_sel:[1,1] op_sel_hi:[1,0] neg_lo:[0,1]
	s_waitcnt vmcnt(3)
	v_xor_b32_e32 v16, 0x80000000, v33
	v_mov_b32_e32 v17, v32
	s_waitcnt vmcnt(2)
	v_xor_b32_e32 v20, 0x80000000, v35
	v_mov_b32_e32 v21, v34
	v_fmac_f32_e32 v22, v26, v26
	v_pk_mul_f32 v[6:7], v[8:9], v[6:7] op_sel:[1,0]
	v_pk_fma_f32 v[10:11], v[30:31], v[10:11], v[12:13] op_sel_hi:[1,0,1]
	v_pk_mul_f32 v[12:13], v[14:15], v[16:17] op_sel:[1,0]
	s_waitcnt vmcnt(0)
	v_pk_mul_f32 v[16:17], v[38:39], v[20:21] op_sel:[1,0]
	v_div_scale_f32 v20, s[4:5], v22, v22, 1.0
	v_pk_fma_f32 v[6:7], v[28:29], v[8:9], v[6:7] op_sel_hi:[1,0,1]
	v_pk_fma_f32 v[8:9], v[32:33], v[14:15], v[12:13] op_sel_hi:[1,0,1]
	v_rcp_f32_e32 v14, v20
	v_pk_add_f32 v[6:7], v[36:37], v[6:7] neg_lo:[0,1] neg_hi:[0,1]
	v_pk_fma_f32 v[12:13], v[34:35], v[38:39], v[16:17] op_sel_hi:[1,0,1]
	v_pk_add_f32 v[6:7], v[6:7], v[10:11] neg_lo:[0,1] neg_hi:[0,1]
	v_fma_f32 v10, -v20, v14, 1.0
	v_pk_add_f32 v[6:7], v[6:7], v[8:9] neg_lo:[0,1] neg_hi:[0,1]
	v_div_scale_f32 v21, vcc, 1.0, v22, 1.0
	v_pk_add_f32 v[6:7], v[6:7], v[12:13] neg_lo:[0,1] neg_hi:[0,1]
	v_fmac_f32_e32 v14, v10, v14
	v_xor_b32_e32 v9, 0x80000000, v6
	v_mov_b32_e32 v8, v7
	v_pk_mul_f32 v[8:9], v[26:27], v[8:9] op_sel:[1,0]
	v_mul_f32_e32 v10, v21, v14
	v_pk_fma_f32 v[6:7], v[6:7], v[26:27], v[8:9] op_sel_hi:[1,0,1]
	v_fma_f32 v8, -v20, v10, v21
	v_fmac_f32_e32 v10, v8, v14
	v_fma_f32 v8, -v20, v10, v21
	v_div_fmas_f32 v8, v8, v14, v10
	v_div_fixup_f32 v8, v8, v22, 1.0
	v_pk_mul_f32 v[6:7], v[8:9], v[6:7] op_sel_hi:[0,1]
	global_store_dwordx2 v[18:19], v[6:7], off
	s_cbranch_scc1 .LBB8_24
.LBB8_25:
	s_endpgm
	.section	.rodata,"a",@progbits
	.p2align	6, 0x0
	.amdhsa_kernel _ZN9rocsparseL39gpsv_interleaved_batch_givens_qr_kernelILj128E21rocsparse_complex_numIfEEEviiiPT0_S4_S4_S4_S4_S4_S4_S4_
		.amdhsa_group_segment_fixed_size 0
		.amdhsa_private_segment_fixed_size 0
		.amdhsa_kernarg_size 80
		.amdhsa_user_sgpr_count 2
		.amdhsa_user_sgpr_dispatch_ptr 0
		.amdhsa_user_sgpr_queue_ptr 0
		.amdhsa_user_sgpr_kernarg_segment_ptr 1
		.amdhsa_user_sgpr_dispatch_id 0
		.amdhsa_user_sgpr_kernarg_preload_length 0
		.amdhsa_user_sgpr_kernarg_preload_offset 0
		.amdhsa_user_sgpr_private_segment_size 0
		.amdhsa_uses_dynamic_stack 0
		.amdhsa_enable_private_segment 0
		.amdhsa_system_sgpr_workgroup_id_x 1
		.amdhsa_system_sgpr_workgroup_id_y 0
		.amdhsa_system_sgpr_workgroup_id_z 0
		.amdhsa_system_sgpr_workgroup_info 0
		.amdhsa_system_vgpr_workitem_id 0
		.amdhsa_next_free_vgpr 64
		.amdhsa_next_free_sgpr 30
		.amdhsa_accum_offset 64
		.amdhsa_reserve_vcc 1
		.amdhsa_float_round_mode_32 0
		.amdhsa_float_round_mode_16_64 0
		.amdhsa_float_denorm_mode_32 3
		.amdhsa_float_denorm_mode_16_64 3
		.amdhsa_dx10_clamp 1
		.amdhsa_ieee_mode 1
		.amdhsa_fp16_overflow 0
		.amdhsa_tg_split 0
		.amdhsa_exception_fp_ieee_invalid_op 0
		.amdhsa_exception_fp_denorm_src 0
		.amdhsa_exception_fp_ieee_div_zero 0
		.amdhsa_exception_fp_ieee_overflow 0
		.amdhsa_exception_fp_ieee_underflow 0
		.amdhsa_exception_fp_ieee_inexact 0
		.amdhsa_exception_int_div_zero 0
	.end_amdhsa_kernel
	.section	.text._ZN9rocsparseL39gpsv_interleaved_batch_givens_qr_kernelILj128E21rocsparse_complex_numIfEEEviiiPT0_S4_S4_S4_S4_S4_S4_S4_,"axG",@progbits,_ZN9rocsparseL39gpsv_interleaved_batch_givens_qr_kernelILj128E21rocsparse_complex_numIfEEEviiiPT0_S4_S4_S4_S4_S4_S4_S4_,comdat
.Lfunc_end8:
	.size	_ZN9rocsparseL39gpsv_interleaved_batch_givens_qr_kernelILj128E21rocsparse_complex_numIfEEEviiiPT0_S4_S4_S4_S4_S4_S4_S4_, .Lfunc_end8-_ZN9rocsparseL39gpsv_interleaved_batch_givens_qr_kernelILj128E21rocsparse_complex_numIfEEEviiiPT0_S4_S4_S4_S4_S4_S4_S4_
                                        ; -- End function
	.set _ZN9rocsparseL39gpsv_interleaved_batch_givens_qr_kernelILj128E21rocsparse_complex_numIfEEEviiiPT0_S4_S4_S4_S4_S4_S4_S4_.num_vgpr, 64
	.set _ZN9rocsparseL39gpsv_interleaved_batch_givens_qr_kernelILj128E21rocsparse_complex_numIfEEEviiiPT0_S4_S4_S4_S4_S4_S4_S4_.num_agpr, 0
	.set _ZN9rocsparseL39gpsv_interleaved_batch_givens_qr_kernelILj128E21rocsparse_complex_numIfEEEviiiPT0_S4_S4_S4_S4_S4_S4_S4_.numbered_sgpr, 30
	.set _ZN9rocsparseL39gpsv_interleaved_batch_givens_qr_kernelILj128E21rocsparse_complex_numIfEEEviiiPT0_S4_S4_S4_S4_S4_S4_S4_.num_named_barrier, 0
	.set _ZN9rocsparseL39gpsv_interleaved_batch_givens_qr_kernelILj128E21rocsparse_complex_numIfEEEviiiPT0_S4_S4_S4_S4_S4_S4_S4_.private_seg_size, 0
	.set _ZN9rocsparseL39gpsv_interleaved_batch_givens_qr_kernelILj128E21rocsparse_complex_numIfEEEviiiPT0_S4_S4_S4_S4_S4_S4_S4_.uses_vcc, 1
	.set _ZN9rocsparseL39gpsv_interleaved_batch_givens_qr_kernelILj128E21rocsparse_complex_numIfEEEviiiPT0_S4_S4_S4_S4_S4_S4_S4_.uses_flat_scratch, 0
	.set _ZN9rocsparseL39gpsv_interleaved_batch_givens_qr_kernelILj128E21rocsparse_complex_numIfEEEviiiPT0_S4_S4_S4_S4_S4_S4_S4_.has_dyn_sized_stack, 0
	.set _ZN9rocsparseL39gpsv_interleaved_batch_givens_qr_kernelILj128E21rocsparse_complex_numIfEEEviiiPT0_S4_S4_S4_S4_S4_S4_S4_.has_recursion, 0
	.set _ZN9rocsparseL39gpsv_interleaved_batch_givens_qr_kernelILj128E21rocsparse_complex_numIfEEEviiiPT0_S4_S4_S4_S4_S4_S4_S4_.has_indirect_call, 0
	.section	.AMDGPU.csdata,"",@progbits
; Kernel info:
; codeLenInByte = 6432
; TotalNumSgprs: 36
; NumVgprs: 64
; NumAgprs: 0
; TotalNumVgprs: 64
; ScratchSize: 0
; MemoryBound: 0
; FloatMode: 240
; IeeeMode: 1
; LDSByteSize: 0 bytes/workgroup (compile time only)
; SGPRBlocks: 4
; VGPRBlocks: 7
; NumSGPRsForWavesPerEU: 36
; NumVGPRsForWavesPerEU: 64
; AccumOffset: 64
; Occupancy: 8
; WaveLimiterHint : 0
; COMPUTE_PGM_RSRC2:SCRATCH_EN: 0
; COMPUTE_PGM_RSRC2:USER_SGPR: 2
; COMPUTE_PGM_RSRC2:TRAP_HANDLER: 0
; COMPUTE_PGM_RSRC2:TGID_X_EN: 1
; COMPUTE_PGM_RSRC2:TGID_Y_EN: 0
; COMPUTE_PGM_RSRC2:TGID_Z_EN: 0
; COMPUTE_PGM_RSRC2:TIDIG_COMP_CNT: 0
; COMPUTE_PGM_RSRC3_GFX90A:ACCUM_OFFSET: 15
; COMPUTE_PGM_RSRC3_GFX90A:TG_SPLIT: 0
	.section	.text._ZN9rocsparseL19gpsv_strided_gatherILj256E21rocsparse_complex_numIdEEEviiiPKT0_PS3_,"axG",@progbits,_ZN9rocsparseL19gpsv_strided_gatherILj256E21rocsparse_complex_numIdEEEviiiPKT0_PS3_,comdat
	.globl	_ZN9rocsparseL19gpsv_strided_gatherILj256E21rocsparse_complex_numIdEEEviiiPKT0_PS3_ ; -- Begin function _ZN9rocsparseL19gpsv_strided_gatherILj256E21rocsparse_complex_numIdEEEviiiPKT0_PS3_
	.p2align	8
	.type	_ZN9rocsparseL19gpsv_strided_gatherILj256E21rocsparse_complex_numIdEEEviiiPKT0_PS3_,@function
_ZN9rocsparseL19gpsv_strided_gatherILj256E21rocsparse_complex_numIdEEEviiiPKT0_PS3_: ; @_ZN9rocsparseL19gpsv_strided_gatherILj256E21rocsparse_complex_numIdEEEviiiPKT0_PS3_
; %bb.0:
	s_load_dword s3, s[0:1], 0x2c
	s_load_dwordx4 s[4:7], s[0:1], 0x0
	s_waitcnt lgkmcnt(0)
	s_and_b32 s3, s3, 0xffff
	s_mul_i32 s2, s2, s3
	s_cmp_gt_i32 s4, 0
	v_add_u32_e32 v0, s2, v0
	v_cmp_gt_i32_e32 vcc, s5, v0
	s_cselect_b64 s[2:3], -1, 0
	s_and_b64 s[2:3], vcc, s[2:3]
	s_and_saveexec_b64 s[8:9], s[2:3]
	s_cbranch_execz .LBB9_3
; %bb.1:
	s_load_dwordx4 s[0:3], s[0:1], 0x10
	v_mov_b32_e32 v2, v0
.LBB9_2:                                ; =>This Inner Loop Header: Depth=1
	v_ashrrev_i32_e32 v1, 31, v0
	s_waitcnt lgkmcnt(0)
	v_lshl_add_u64 v[4:5], v[0:1], 4, s[0:1]
	global_load_dwordx4 v[4:7], v[4:5], off
	v_ashrrev_i32_e32 v3, 31, v2
	s_add_i32 s4, s4, -1
	v_lshl_add_u64 v[8:9], v[2:3], 4, s[2:3]
	v_add_u32_e32 v2, s5, v2
	s_cmp_lg_u32 s4, 0
	v_add_u32_e32 v0, s6, v0
	s_waitcnt vmcnt(0)
	global_store_dwordx4 v[8:9], v[4:7], off
	s_cbranch_scc1 .LBB9_2
.LBB9_3:
	s_endpgm
	.section	.rodata,"a",@progbits
	.p2align	6, 0x0
	.amdhsa_kernel _ZN9rocsparseL19gpsv_strided_gatherILj256E21rocsparse_complex_numIdEEEviiiPKT0_PS3_
		.amdhsa_group_segment_fixed_size 0
		.amdhsa_private_segment_fixed_size 0
		.amdhsa_kernarg_size 288
		.amdhsa_user_sgpr_count 2
		.amdhsa_user_sgpr_dispatch_ptr 0
		.amdhsa_user_sgpr_queue_ptr 0
		.amdhsa_user_sgpr_kernarg_segment_ptr 1
		.amdhsa_user_sgpr_dispatch_id 0
		.amdhsa_user_sgpr_kernarg_preload_length 0
		.amdhsa_user_sgpr_kernarg_preload_offset 0
		.amdhsa_user_sgpr_private_segment_size 0
		.amdhsa_uses_dynamic_stack 0
		.amdhsa_enable_private_segment 0
		.amdhsa_system_sgpr_workgroup_id_x 1
		.amdhsa_system_sgpr_workgroup_id_y 0
		.amdhsa_system_sgpr_workgroup_id_z 0
		.amdhsa_system_sgpr_workgroup_info 0
		.amdhsa_system_vgpr_workitem_id 0
		.amdhsa_next_free_vgpr 10
		.amdhsa_next_free_sgpr 10
		.amdhsa_accum_offset 12
		.amdhsa_reserve_vcc 1
		.amdhsa_float_round_mode_32 0
		.amdhsa_float_round_mode_16_64 0
		.amdhsa_float_denorm_mode_32 3
		.amdhsa_float_denorm_mode_16_64 3
		.amdhsa_dx10_clamp 1
		.amdhsa_ieee_mode 1
		.amdhsa_fp16_overflow 0
		.amdhsa_tg_split 0
		.amdhsa_exception_fp_ieee_invalid_op 0
		.amdhsa_exception_fp_denorm_src 0
		.amdhsa_exception_fp_ieee_div_zero 0
		.amdhsa_exception_fp_ieee_overflow 0
		.amdhsa_exception_fp_ieee_underflow 0
		.amdhsa_exception_fp_ieee_inexact 0
		.amdhsa_exception_int_div_zero 0
	.end_amdhsa_kernel
	.section	.text._ZN9rocsparseL19gpsv_strided_gatherILj256E21rocsparse_complex_numIdEEEviiiPKT0_PS3_,"axG",@progbits,_ZN9rocsparseL19gpsv_strided_gatherILj256E21rocsparse_complex_numIdEEEviiiPKT0_PS3_,comdat
.Lfunc_end9:
	.size	_ZN9rocsparseL19gpsv_strided_gatherILj256E21rocsparse_complex_numIdEEEviiiPKT0_PS3_, .Lfunc_end9-_ZN9rocsparseL19gpsv_strided_gatherILj256E21rocsparse_complex_numIdEEEviiiPKT0_PS3_
                                        ; -- End function
	.set _ZN9rocsparseL19gpsv_strided_gatherILj256E21rocsparse_complex_numIdEEEviiiPKT0_PS3_.num_vgpr, 10
	.set _ZN9rocsparseL19gpsv_strided_gatherILj256E21rocsparse_complex_numIdEEEviiiPKT0_PS3_.num_agpr, 0
	.set _ZN9rocsparseL19gpsv_strided_gatherILj256E21rocsparse_complex_numIdEEEviiiPKT0_PS3_.numbered_sgpr, 10
	.set _ZN9rocsparseL19gpsv_strided_gatherILj256E21rocsparse_complex_numIdEEEviiiPKT0_PS3_.num_named_barrier, 0
	.set _ZN9rocsparseL19gpsv_strided_gatherILj256E21rocsparse_complex_numIdEEEviiiPKT0_PS3_.private_seg_size, 0
	.set _ZN9rocsparseL19gpsv_strided_gatherILj256E21rocsparse_complex_numIdEEEviiiPKT0_PS3_.uses_vcc, 1
	.set _ZN9rocsparseL19gpsv_strided_gatherILj256E21rocsparse_complex_numIdEEEviiiPKT0_PS3_.uses_flat_scratch, 0
	.set _ZN9rocsparseL19gpsv_strided_gatherILj256E21rocsparse_complex_numIdEEEviiiPKT0_PS3_.has_dyn_sized_stack, 0
	.set _ZN9rocsparseL19gpsv_strided_gatherILj256E21rocsparse_complex_numIdEEEviiiPKT0_PS3_.has_recursion, 0
	.set _ZN9rocsparseL19gpsv_strided_gatherILj256E21rocsparse_complex_numIdEEEviiiPKT0_PS3_.has_indirect_call, 0
	.section	.AMDGPU.csdata,"",@progbits
; Kernel info:
; codeLenInByte = 144
; TotalNumSgprs: 16
; NumVgprs: 10
; NumAgprs: 0
; TotalNumVgprs: 10
; ScratchSize: 0
; MemoryBound: 0
; FloatMode: 240
; IeeeMode: 1
; LDSByteSize: 0 bytes/workgroup (compile time only)
; SGPRBlocks: 1
; VGPRBlocks: 1
; NumSGPRsForWavesPerEU: 16
; NumVGPRsForWavesPerEU: 10
; AccumOffset: 12
; Occupancy: 8
; WaveLimiterHint : 0
; COMPUTE_PGM_RSRC2:SCRATCH_EN: 0
; COMPUTE_PGM_RSRC2:USER_SGPR: 2
; COMPUTE_PGM_RSRC2:TRAP_HANDLER: 0
; COMPUTE_PGM_RSRC2:TGID_X_EN: 1
; COMPUTE_PGM_RSRC2:TGID_Y_EN: 0
; COMPUTE_PGM_RSRC2:TGID_Z_EN: 0
; COMPUTE_PGM_RSRC2:TIDIG_COMP_CNT: 0
; COMPUTE_PGM_RSRC3_GFX90A:ACCUM_OFFSET: 2
; COMPUTE_PGM_RSRC3_GFX90A:TG_SPLIT: 0
	.section	.text._ZN9rocsparseL44gpsv_interleaved_batch_householder_qr_kernelILj256E21rocsparse_complex_numIdEEEviiiPT0_S4_S4_S4_S4_S4_S4_S4_S4_,"axG",@progbits,_ZN9rocsparseL44gpsv_interleaved_batch_householder_qr_kernelILj256E21rocsparse_complex_numIdEEEviiiPT0_S4_S4_S4_S4_S4_S4_S4_S4_,comdat
	.globl	_ZN9rocsparseL44gpsv_interleaved_batch_householder_qr_kernelILj256E21rocsparse_complex_numIdEEEviiiPT0_S4_S4_S4_S4_S4_S4_S4_S4_ ; -- Begin function _ZN9rocsparseL44gpsv_interleaved_batch_householder_qr_kernelILj256E21rocsparse_complex_numIdEEEviiiPT0_S4_S4_S4_S4_S4_S4_S4_S4_
	.p2align	8
	.type	_ZN9rocsparseL44gpsv_interleaved_batch_householder_qr_kernelILj256E21rocsparse_complex_numIdEEEviiiPT0_S4_S4_S4_S4_S4_S4_S4_S4_,@function
_ZN9rocsparseL44gpsv_interleaved_batch_householder_qr_kernelILj256E21rocsparse_complex_numIdEEEviiiPT0_S4_S4_S4_S4_S4_S4_S4_S4_: ; @_ZN9rocsparseL44gpsv_interleaved_batch_householder_qr_kernelILj256E21rocsparse_complex_numIdEEEviiiPT0_S4_S4_S4_S4_S4_S4_S4_S4_
; %bb.0:
	s_load_dword s3, s[0:1], 0x64
	s_load_dwordx4 s[8:11], s[0:1], 0x0
	s_waitcnt lgkmcnt(0)
	s_and_b32 s3, s3, 0xffff
	s_mul_i32 s11, s2, s3
	v_add_u32_e32 v1, s11, v0
	v_cmp_gt_i32_e32 vcc, s9, v1
	s_and_saveexec_b64 s[2:3], vcc
	s_cbranch_execz .LBB10_36
; %bb.1:
	s_load_dwordx2 s[6:7], s[0:1], 0x50
	s_load_dwordx4 s[12:15], s[0:1], 0x40
	s_load_dwordx4 s[16:19], s[0:1], 0x20
	s_load_dwordx2 s[20:21], s[0:1], 0x30
	s_cmp_lt_i32 s8, 2
	s_cbranch_scc1 .LBB10_23
; %bb.2:
	s_load_dwordx2 s[22:23], s[0:1], 0x18
	s_add_i32 s33, s8, -2
	s_cmp_eq_u32 s33, 0
	s_mov_b32 s4, 0
	s_cbranch_scc1 .LBB10_14
; %bb.3:
	s_load_dwordx2 s[24:25], s[0:1], 0x10
	s_mov_b32 s26, 0
	s_mov_b32 s28, 0
	v_add_u32_e32 v124, s9, v0
	v_lshl_add_u32 v125, s9, 1, v0
	v_lshl_add_u32 v126, s10, 1, v0
	v_add_u32_e32 v127, s10, v0
	s_mov_b32 s36, 0
	s_brev_b32 s27, 8
	v_mov_b32_e32 v128, 0x260
	s_brev_b32 s29, 1
	v_mov_b32_e32 v129, 0x100
	v_mov_b32_e32 v130, 0xffffff80
	;; [unrolled: 1-line block ×4, first 2 shown]
	s_branch .LBB10_6
.LBB10_4:                               ;   in Loop: Header=BB10_6 Depth=1
	s_or_b64 exec, exec, s[4:5]
	v_add_f64 v[54:55], v[50:51], v[52:53]
	v_mul_f64 v[54:55], v[54:55], 0.5
	v_cmp_gt_f64_e32 vcc, s[26:27], v[54:55]
	v_add_f64 v[50:51], v[52:53], -v[50:51]
	v_mul_f64 v[50:51], v[50:51], 0.5
	v_cndmask_b32_e32 v56, 0, v129, vcc
	v_ldexp_f64 v[54:55], v[54:55], v56
	v_rsq_f64_e32 v[56:57], v[54:55]
	v_cmp_class_f64_e64 s[4:5], v[54:55], v128
	v_add_u32_e32 v70, s11, v132
	v_ashrrev_i32_e32 v71, 31, v70
	v_mul_f64 v[66:67], v[54:55], v[56:57]
	v_mul_f64 v[56:57], v[56:57], 0.5
	v_fma_f64 v[68:69], -v[56:57], v[66:67], 0.5
	v_fmac_f64_e32 v[66:67], v[66:67], v[68:69]
	v_fmac_f64_e32 v[56:57], v[56:57], v[68:69]
	v_fma_f64 v[68:69], -v[66:67], v[66:67], v[54:55]
	v_fmac_f64_e32 v[66:67], v[68:69], v[56:57]
	v_fma_f64 v[68:69], -v[66:67], v[66:67], v[54:55]
	v_fmac_f64_e32 v[66:67], v[68:69], v[56:57]
	v_cndmask_b32_e32 v56, 0, v130, vcc
	v_cmp_gt_f64_e32 vcc, s[26:27], v[50:51]
	v_ldexp_f64 v[56:57], v[66:67], v56
	v_cndmask_b32_e64 v54, v56, v54, s[4:5]
	v_cndmask_b32_e32 v52, 0, v129, vcc
	v_ldexp_f64 v[50:51], v[50:51], v52
	v_rsq_f64_e32 v[52:53], v[50:51]
	v_cndmask_b32_e64 v55, v57, v55, s[4:5]
	v_lshlrev_b64 v[116:117], 4, v[70:71]
	v_lshl_add_u64 v[102:103], v[64:65], 4, s[12:13]
	v_mul_f64 v[56:57], v[50:51], v[52:53]
	v_mul_f64 v[52:53], v[52:53], 0.5
	v_fma_f64 v[66:67], -v[52:53], v[56:57], 0.5
	v_fmac_f64_e32 v[56:57], v[56:57], v[66:67]
	v_fma_f64 v[68:69], -v[56:57], v[56:57], v[50:51]
	v_fmac_f64_e32 v[52:53], v[52:53], v[66:67]
	v_fmac_f64_e32 v[56:57], v[68:69], v[52:53]
	v_fma_f64 v[66:67], -v[56:57], v[56:57], v[50:51]
	v_fmac_f64_e32 v[56:57], v[66:67], v[52:53]
	v_cndmask_b32_e32 v52, 0, v130, vcc
	v_ldexp_f64 v[52:53], v[56:57], v52
	v_cmp_class_f64_e32 vcc, v[50:51], v128
	v_lshl_add_u64 v[114:115], s[12:13], 0, v[116:117]
	v_lshlrev_b64 v[62:63], 4, v[62:63]
	v_cndmask_b32_e32 v51, v53, v51, vcc
	v_cndmask_b32_e32 v50, v52, v50, vcc
	v_xor_b32_e32 v52, 0x80000000, v51
	v_cndmask_b32_e64 v51, v51, v52, s[2:3]
	v_xor_b32_e32 v52, 0x80000000, v55
	v_cmp_lt_f64_e32 vcc, 0, v[46:47]
	v_lshl_add_u64 v[104:105], s[18:19], 0, v[62:63]
	s_nop 0
	v_cndmask_b32_e32 v55, v52, v55, vcc
	v_xor_b32_e32 v52, 0x80000000, v51
	v_cndmask_b32_e32 v51, v52, v51, vcc
	v_add_f64 v[74:75], v[48:49], v[50:51]
	v_add_f64 v[72:73], v[46:47], v[54:55]
	v_mul_f64 v[50:51], v[74:75], v[74:75]
	v_fmac_f64_e32 v[50:51], v[72:73], v[72:73]
	v_div_scale_f64 v[52:53], s[2:3], v[50:51], v[50:51], 1.0
	v_rcp_f64_e32 v[54:55], v[52:53]
	v_mul_f64 v[68:69], v[72:73], v[74:75]
	v_fmac_f64_e32 v[68:69], v[74:75], v[72:73]
	v_add_f64 v[136:137], v[58:59], v[68:69]
	v_fma_f64 v[56:57], -v[52:53], v[54:55], 1.0
	v_fmac_f64_e32 v[54:55], v[54:55], v[56:57]
	v_fma_f64 v[56:57], -v[52:53], v[54:55], 1.0
	v_fmac_f64_e32 v[54:55], v[54:55], v[56:57]
	v_div_scale_f64 v[56:57], vcc, 1.0, v[50:51], 1.0
	v_mul_f64 v[66:67], v[56:57], v[54:55]
	v_fma_f64 v[52:53], -v[52:53], v[66:67], v[56:57]
	v_mul_f64 v[64:65], v[136:137], v[136:137]
	s_nop 0
	v_div_fmas_f64 v[52:53], v[52:53], v[54:55], v[66:67]
	v_div_fixup_f64 v[52:53], v[52:53], v[50:51], 1.0
	v_mul_f64 v[50:51], v[44:45], v[74:75]
	v_fmac_f64_e32 v[50:51], v[42:43], v[72:73]
	v_mul_f64 v[54:55], v[50:51], v[52:53]
	v_mul_f64 v[50:51], v[74:75], -v[42:43]
	v_fmac_f64_e32 v[50:51], v[44:45], v[72:73]
	v_mul_f64 v[56:57], v[50:51], v[52:53]
	v_mul_f64 v[50:51], v[40:41], v[74:75]
	v_mul_f64 v[66:67], v[74:75], -v[38:39]
	v_fmac_f64_e32 v[50:51], v[38:39], v[72:73]
	v_fmac_f64_e32 v[66:67], v[40:41], v[72:73]
	v_mul_f64 v[50:51], v[50:51], v[52:53]
	v_mul_f64 v[52:53], v[66:67], v[52:53]
	v_mul_f64 v[66:67], v[74:75], -v[74:75]
	v_fmac_f64_e32 v[66:67], v[72:73], v[72:73]
	global_load_dwordx4 v[70:73], v[102:103], off
	global_load_dwordx4 v[74:77], v[114:115], off
	v_add_f64 v[134:135], v[60:61], v[66:67]
	v_fmac_f64_e32 v[64:65], v[134:135], v[134:135]
	v_div_scale_f64 v[106:107], s[2:3], v[64:65], v[64:65], 1.0
	v_rcp_f64_e32 v[108:109], v[106:107]
	v_mul_f64 v[112:113], v[68:69], s[28:29]
	v_add_f64 v[138:139], v[68:69], v[68:69]
	v_fmac_f64_e32 v[112:113], 2.0, v[66:67]
	v_fma_f64 v[58:59], -v[106:107], v[108:109], 1.0
	v_fmac_f64_e32 v[108:109], v[108:109], v[58:59]
	v_fmac_f64_e32 v[138:139], 0, v[66:67]
	v_fma_f64 v[66:67], -v[106:107], v[108:109], 1.0
	v_fmac_f64_e32 v[108:109], v[108:109], v[66:67]
	v_div_scale_f64 v[66:67], vcc, 1.0, v[64:65], 1.0
	v_mul_f64 v[68:69], v[66:67], v[108:109]
	v_fma_f64 v[66:67], -v[106:107], v[68:69], v[66:67]
	v_fma_f64 v[118:119], v[56:57], v[54:55], 0
	s_nop 0
	v_div_fmas_f64 v[66:67], v[66:67], v[108:109], v[68:69]
	v_div_fixup_f64 v[140:141], v[66:67], v[64:65], 1.0
	v_mul_f64 v[66:67], v[136:137], v[138:139]
	v_fmac_f64_e32 v[66:67], v[112:113], v[134:135]
	v_mul_f64 v[110:111], v[140:141], v[66:67]
	v_fma_f64 v[66:67], v[54:55], v[54:55], 1.0
	v_fmac_f64_e32 v[118:119], v[54:55], v[56:57]
	v_fma_f64 v[66:67], -v[56:57], v[56:57], v[66:67]
	v_fmac_f64_e32 v[118:119], v[52:53], v[50:51]
	v_fmac_f64_e32 v[66:67], v[50:51], v[50:51]
	;; [unrolled: 1-line block ×3, first 2 shown]
	v_fma_f64 v[120:121], -v[52:53], v[52:53], v[66:67]
	v_mul_f64 v[122:123], v[118:119], v[118:119]
	v_fmac_f64_e32 v[122:123], v[120:121], v[120:121]
	v_div_scale_f64 v[142:143], s[2:3], v[122:123], v[122:123], 1.0
	global_load_dwordx4 v[58:61], v[104:105], off
	v_rcp_f64_e32 v[144:145], v[142:143]
	v_mul_f64 v[112:113], v[136:137], -v[112:113]
	v_fmac_f64_e32 v[112:113], v[138:139], v[134:135]
	v_lshl_add_u64 v[106:107], s[20:21], 0, v[62:63]
	v_fma_f64 v[134:135], -v[142:143], v[144:145], 1.0
	v_fmac_f64_e32 v[144:145], v[144:145], v[134:135]
	global_load_dwordx4 v[62:65], v[106:107], off
	v_fma_f64 v[134:135], -v[142:143], v[144:145], 1.0
	v_fmac_f64_e32 v[144:145], v[144:145], v[134:135]
	v_div_scale_f64 v[138:139], vcc, 1.0, v[122:123], 1.0
	v_mul_f64 v[112:113], v[140:141], v[112:113]
	v_mul_f64 v[140:141], v[138:139], v[144:145]
	v_fma_f64 v[138:139], -v[142:143], v[140:141], v[138:139]
	v_lshl_add_u64 v[108:109], s[14:15], 0, v[116:117]
	v_div_fmas_f64 v[138:139], v[138:139], v[144:145], v[140:141]
	v_fma_f64 v[140:141], v[54:55], v[42:43], v[46:47]
	v_fma_f64 v[42:43], v[56:57], v[42:43], v[48:49]
	global_load_dwordx4 v[66:69], v[108:109], off
	v_fmac_f64_e32 v[42:43], v[54:55], v[44:45]
	v_fma_f64 v[140:141], -v[56:57], v[44:45], v[140:141]
	v_fmac_f64_e32 v[42:43], v[52:53], v[38:39]
	v_fmac_f64_e32 v[140:141], v[50:51], v[38:39]
	v_fmac_f64_e32 v[42:43], v[50:51], v[40:41]
	v_lshl_add_u64 v[116:117], s[6:7], 0, v[116:117]
	v_fma_f64 v[44:45], -v[52:53], v[40:41], v[140:141]
	v_mul_f64 v[38:39], v[112:113], -v[42:43]
	global_load_dwordx4 v[134:137], v[116:117], off
	v_fmac_f64_e32 v[38:39], v[44:45], v[110:111]
	v_mul_f64 v[40:41], v[112:113], v[44:45]
	v_fmac_f64_e32 v[40:41], v[42:43], v[110:111]
	v_add_f64 v[42:43], v[46:47], -v[38:39]
	v_add_f64 v[44:45], v[48:49], -v[40:41]
	global_store_dwordx4 v[100:101], v[42:45], off
	v_div_fixup_f64 v[122:123], v[138:139], v[122:123], 1.0
	v_mul_f64 v[138:139], v[118:119], 0
	v_mul_f64 v[118:119], v[118:119], -2.0
	v_fmac_f64_e32 v[118:119], 0, v[120:121]
	v_fmac_f64_e32 v[138:139], 2.0, v[120:121]
	s_waitcnt vmcnt(5)
	v_fma_f64 v[46:47], v[56:57], v[22:23], v[76:77]
	v_fma_f64 v[38:39], v[54:55], v[22:23], v[74:75]
	v_fmac_f64_e32 v[46:47], v[54:55], v[24:25]
	v_fma_f64 v[38:39], -v[56:57], v[24:25], v[38:39]
	v_fmac_f64_e32 v[46:47], v[52:53], v[10:11]
	v_fmac_f64_e32 v[38:39], v[50:51], v[10:11]
	;; [unrolled: 1-line block ×3, first 2 shown]
	v_fma_f64 v[40:41], -v[52:53], v[12:13], v[38:39]
	v_mul_f64 v[38:39], v[112:113], -v[46:47]
	v_fmac_f64_e32 v[38:39], v[40:41], v[110:111]
	v_mul_f64 v[40:41], v[112:113], v[40:41]
	v_fmac_f64_e32 v[40:41], v[46:47], v[110:111]
	v_add_f64 v[46:47], v[74:75], -v[38:39]
	v_add_f64 v[48:49], v[76:77], -v[40:41]
	global_store_dwordx4 v[114:115], v[46:49], off
	global_load_dwordx4 v[46:49], v[102:103], off
	v_fma_f64 v[22:23], -v[38:39], v[54:55], v[22:23]
	v_fma_f64 v[24:25], -v[40:41], v[54:55], v[24:25]
	v_fmac_f64_e32 v[22:23], v[40:41], v[56:57]
	v_fma_f64 v[24:25], -v[38:39], v[56:57], v[24:25]
	v_fma_f64 v[10:11], -v[38:39], v[50:51], v[10:11]
	;; [unrolled: 1-line block ×3, first 2 shown]
	v_fmac_f64_e32 v[10:11], v[40:41], v[52:53]
	v_fma_f64 v[12:13], -v[38:39], v[52:53], v[12:13]
	s_waitcnt vmcnt(6)
	v_fma_f64 v[76:77], v[56:57], v[30:31], v[60:61]
	v_fma_f64 v[74:75], v[54:55], v[30:31], v[58:59]
	v_fmac_f64_e32 v[76:77], v[54:55], v[32:33]
	v_fma_f64 v[74:75], -v[56:57], v[32:33], v[74:75]
	v_fmac_f64_e32 v[76:77], v[52:53], v[18:19]
	v_fmac_f64_e32 v[74:75], v[50:51], v[18:19]
	;; [unrolled: 1-line block ×3, first 2 shown]
	v_fma_f64 v[74:75], -v[52:53], v[20:21], v[74:75]
	v_mul_f64 v[114:115], v[112:113], -v[76:77]
	v_fmac_f64_e32 v[114:115], v[74:75], v[110:111]
	v_mul_f64 v[74:75], v[112:113], v[74:75]
	v_fmac_f64_e32 v[74:75], v[76:77], v[110:111]
	s_waitcnt vmcnt(5)
	v_fma_f64 v[76:77], v[54:55], v[26:27], v[62:63]
	v_fma_f64 v[42:43], v[56:57], v[26:27], v[64:65]
	v_fma_f64 v[76:77], -v[56:57], v[28:29], v[76:77]
	v_fmac_f64_e32 v[42:43], v[54:55], v[28:29]
	v_fmac_f64_e32 v[76:77], v[50:51], v[14:15]
	;; [unrolled: 1-line block ×3, first 2 shown]
	v_fma_f64 v[44:45], -v[52:53], v[16:17], v[76:77]
	v_fmac_f64_e32 v[42:43], v[50:51], v[16:17]
	v_mul_f64 v[76:77], v[112:113], -v[42:43]
	v_mul_f64 v[100:101], v[112:113], v[44:45]
	v_fmac_f64_e32 v[76:77], v[44:45], v[110:111]
	v_fmac_f64_e32 v[100:101], v[42:43], v[110:111]
	s_waitcnt vmcnt(4)
	v_fma_f64 v[42:43], v[54:55], v[70:71], v[66:67]
	v_fma_f64 v[44:45], v[56:57], v[70:71], v[68:69]
	v_fma_f64 v[42:43], -v[56:57], v[72:73], v[42:43]
	v_fmac_f64_e32 v[44:45], v[54:55], v[72:73]
	v_fmac_f64_e32 v[42:43], v[50:51], v[6:7]
	;; [unrolled: 1-line block ×3, first 2 shown]
	v_fma_f64 v[42:43], -v[52:53], v[8:9], v[42:43]
	v_fmac_f64_e32 v[44:45], v[50:51], v[8:9]
	v_mul_f64 v[70:71], v[112:113], -v[44:45]
	v_mul_f64 v[72:73], v[112:113], v[42:43]
	s_waitcnt vmcnt(3)
	v_fma_f64 v[112:113], v[56:57], v[34:35], v[136:137]
	v_fmac_f64_e32 v[70:71], v[42:43], v[110:111]
	v_fmac_f64_e32 v[72:73], v[44:45], v[110:111]
	v_fma_f64 v[110:111], v[54:55], v[34:35], v[134:135]
	v_fmac_f64_e32 v[112:113], v[54:55], v[36:37]
	v_fma_f64 v[110:111], -v[56:57], v[36:37], v[110:111]
	v_fmac_f64_e32 v[112:113], v[52:53], v[2:3]
	v_mul_f64 v[44:45], v[118:119], v[122:123]
	v_fmac_f64_e32 v[110:111], v[50:51], v[2:3]
	v_fmac_f64_e32 v[112:113], v[50:51], v[4:5]
	v_mul_f64 v[42:43], v[138:139], v[122:123]
	v_fma_f64 v[110:111], -v[52:53], v[4:5], v[110:111]
	v_mul_f64 v[118:119], v[44:45], -v[112:113]
	v_fmac_f64_e32 v[118:119], v[110:111], v[42:43]
	v_mul_f64 v[110:111], v[110:111], v[44:45]
	v_fmac_f64_e32 v[110:111], v[112:113], v[42:43]
	v_add_f64 v[42:43], v[58:59], -v[114:115]
	v_add_f64 v[44:45], v[60:61], -v[74:75]
	global_store_dwordx4 v[104:105], v[42:45], off
	v_fma_f64 v[30:31], -v[114:115], v[54:55], v[30:31]
	v_fma_f64 v[32:33], -v[74:75], v[54:55], v[32:33]
	v_add_f64 v[42:43], v[62:63], -v[76:77]
	v_add_f64 v[44:45], v[64:65], -v[100:101]
	global_store_dwordx4 v[106:107], v[42:45], off
	v_fma_f64 v[26:27], -v[76:77], v[54:55], v[26:27]
	v_fma_f64 v[28:29], -v[100:101], v[54:55], v[28:29]
	;; [unrolled: 5-line block ×3, first 2 shown]
	v_add_f64 v[42:43], v[134:135], -v[118:119]
	v_add_f64 v[44:45], v[136:137], -v[110:111]
	global_store_dwordx4 v[116:117], v[42:45], off
	global_store_dwordx4 v[86:87], v[54:57], off
	global_store_dwordx4 v[94:95], v[22:25], off
	v_fma_f64 v[14:15], -v[76:77], v[50:51], v[14:15]
	v_fma_f64 v[16:17], -v[100:101], v[50:51], v[16:17]
	s_waitcnt vmcnt(6)
	v_fma_f64 v[22:23], -v[70:71], v[54:55], v[46:47]
	v_fma_f64 v[24:25], -v[72:73], v[54:55], v[48:49]
	v_fmac_f64_e32 v[22:23], v[72:73], v[56:57]
	v_fma_f64 v[24:25], -v[70:71], v[56:57], v[24:25]
	global_store_dwordx4 v[102:103], v[22:25], off
	v_fma_f64 v[6:7], -v[70:71], v[50:51], v[6:7]
	v_fma_f64 v[8:9], -v[72:73], v[50:51], v[8:9]
	;; [unrolled: 1-line block ×6, first 2 shown]
	v_fmac_f64_e32 v[30:31], v[74:75], v[56:57]
	v_fma_f64 v[32:33], -v[114:115], v[56:57], v[32:33]
	v_fmac_f64_e32 v[26:27], v[100:101], v[56:57]
	v_fma_f64 v[28:29], -v[76:77], v[56:57], v[28:29]
	;; [unrolled: 2-line block ×7, first 2 shown]
	global_store_dwordx4 v[98:99], v[30:33], off
	global_store_dwordx4 v[96:97], v[26:29], off
	;; [unrolled: 1-line block ×9, first 2 shown]
.LBB10_5:                               ;   in Loop: Header=BB10_6 Depth=1
	s_or_b64 exec, exec, s[30:31]
	s_add_i32 s36, s36, 1
	v_add_u32_e32 v124, s9, v124
	v_add_u32_e32 v125, s9, v125
	;; [unrolled: 1-line block ×5, first 2 shown]
	s_cmp_eq_u32 s33, s36
	v_add_u32_e32 v131, s10, v131
	s_cbranch_scc1 .LBB10_13
.LBB10_6:                               ; =>This Inner Loop Header: Depth=1
	v_add_u32_e32 v2, s11, v126
	v_ashrrev_i32_e32 v3, 31, v2
	s_waitcnt lgkmcnt(0)
	v_lshl_add_u64 v[78:79], v[2:3], 4, s[24:25]
	v_add_u32_e32 v4, s11, v127
	global_load_dwordx4 v[38:41], v[78:79], off
	v_ashrrev_i32_e32 v5, 31, v4
	v_lshl_add_u64 v[86:87], v[4:5], 4, s[22:23]
	global_load_dwordx4 v[42:45], v[86:87], off
	s_waitcnt vmcnt(1)
	v_mul_f64 v[6:7], v[40:41], -v[40:41]
	v_mul_f64 v[58:59], v[38:39], v[40:41]
	v_fmac_f64_e32 v[6:7], v[38:39], v[38:39]
	v_fmac_f64_e32 v[58:59], v[40:41], v[38:39]
	s_waitcnt vmcnt(0)
	v_fmac_f64_e32 v[6:7], v[42:43], v[42:43]
	v_fmac_f64_e32 v[58:59], v[44:45], v[42:43]
	v_fma_f64 v[60:61], -v[44:45], v[44:45], v[6:7]
	v_fmac_f64_e32 v[58:59], v[42:43], v[44:45]
	v_cmp_neq_f64_e32 vcc, 0, v[60:61]
	v_cmp_neq_f64_e64 s[2:3], 0, v[58:59]
	s_or_b64 s[2:3], vcc, s[2:3]
	s_and_saveexec_b64 s[30:31], s[2:3]
	s_cbranch_execz .LBB10_5
; %bb.7:                                ;   in Loop: Header=BB10_6 Depth=1
	v_add_u32_e32 v62, s11, v131
	v_add_u32_e32 v64, s11, v124
	v_lshlrev_b64 v[4:5], 4, v[4:5]
	v_ashrrev_i32_e32 v63, 31, v62
	v_lshl_add_u64 v[98:99], s[16:17], 0, v[4:5]
	v_lshl_add_u64 v[96:97], s[18:19], 0, v[4:5]
	;; [unrolled: 1-line block ×3, first 2 shown]
	v_ashrrev_i32_e32 v65, 31, v64
	v_lshl_add_u64 v[100:101], v[62:63], 4, s[16:17]
	global_load_dwordx4 v[30:33], v[98:99], off
	global_load_dwordx4 v[26:29], v[96:97], off
	;; [unrolled: 1-line block ×3, first 2 shown]
	v_lshl_add_u64 v[88:89], v[64:65], 4, s[6:7]
	global_load_dwordx4 v[46:49], v[100:101], off
	global_load_dwordx4 v[34:37], v[88:89], off
	v_add_u32_e32 v50, s11, v125
	v_lshlrev_b64 v[2:3], 4, v[2:3]
	v_ashrrev_i32_e32 v51, 31, v50
	v_lshl_add_u64 v[92:93], s[22:23], 0, v[2:3]
	v_lshl_add_u64 v[90:91], s[16:17], 0, v[2:3]
	;; [unrolled: 1-line block ×5, first 2 shown]
	global_load_dwordx4 v[18:21], v[92:93], off
	global_load_dwordx4 v[14:17], v[90:91], off
	;; [unrolled: 1-line block ×5, first 2 shown]
	s_waitcnt vmcnt(6)
	v_fma_f64 v[50:51], v[46:47], v[46:47], v[60:61]
	v_fma_f64 v[66:67], v[48:49], v[46:47], v[58:59]
	v_fma_f64 v[50:51], -v[48:49], v[48:49], v[50:51]
	v_fmac_f64_e32 v[66:67], v[46:47], v[48:49]
	v_xor_b32_e32 v52, 0x80000000, v51
	v_xor_b32_e32 v53, 0x80000000, v67
	v_cmp_gt_f64_e32 vcc, 0, v[50:51]
	v_cmp_gt_f64_e64 s[2:3], 0, v[66:67]
	v_mov_b32_e32 v54, v50
	v_cndmask_b32_e32 v55, v51, v52, vcc
	v_cndmask_b32_e64 v57, v67, v53, s[2:3]
	v_mov_b32_e32 v56, v66
	v_cmp_ngt_f64_e32 vcc, v[54:55], v[56:57]
                                        ; implicit-def: $vgpr52_vgpr53
	s_and_saveexec_b64 s[4:5], vcc
	s_xor_b64 s[4:5], exec, s[4:5]
	s_cbranch_execz .LBB10_11
; %bb.8:                                ;   in Loop: Header=BB10_6 Depth=1
	v_mov_b64_e32 v[52:53], 0
	v_cmp_neq_f64_e32 vcc, 0, v[66:67]
	s_and_saveexec_b64 s[34:35], vcc
	s_cbranch_execz .LBB10_10
; %bb.9:                                ;   in Loop: Header=BB10_6 Depth=1
	v_div_scale_f64 v[52:53], s[38:39], v[56:57], v[56:57], v[54:55]
	v_rcp_f64_e32 v[66:67], v[52:53]
	v_div_scale_f64 v[68:69], vcc, v[54:55], v[56:57], v[54:55]
	v_fma_f64 v[70:71], -v[52:53], v[66:67], 1.0
	v_fmac_f64_e32 v[66:67], v[66:67], v[70:71]
	v_fma_f64 v[70:71], -v[52:53], v[66:67], 1.0
	v_fmac_f64_e32 v[66:67], v[66:67], v[70:71]
	v_mul_f64 v[70:71], v[68:69], v[66:67]
	v_fma_f64 v[52:53], -v[52:53], v[70:71], v[68:69]
	v_div_fmas_f64 v[52:53], v[52:53], v[66:67], v[70:71]
	v_div_fixup_f64 v[52:53], v[52:53], v[56:57], v[54:55]
	v_fma_f64 v[52:53], v[52:53], v[52:53], 1.0
	v_cmp_gt_f64_e32 vcc, s[26:27], v[52:53]
	s_nop 1
	v_cndmask_b32_e32 v54, 0, v129, vcc
	v_ldexp_f64 v[52:53], v[52:53], v54
	v_rsq_f64_e32 v[54:55], v[52:53]
	s_nop 0
	v_mul_f64 v[66:67], v[52:53], v[54:55]
	v_mul_f64 v[54:55], v[54:55], 0.5
	v_fma_f64 v[68:69], -v[54:55], v[66:67], 0.5
	v_fmac_f64_e32 v[66:67], v[66:67], v[68:69]
	v_fma_f64 v[70:71], -v[66:67], v[66:67], v[52:53]
	v_fmac_f64_e32 v[54:55], v[54:55], v[68:69]
	v_fmac_f64_e32 v[66:67], v[70:71], v[54:55]
	v_fma_f64 v[68:69], -v[66:67], v[66:67], v[52:53]
	v_fmac_f64_e32 v[66:67], v[68:69], v[54:55]
	v_cndmask_b32_e32 v54, 0, v130, vcc
	v_ldexp_f64 v[54:55], v[66:67], v54
	v_cmp_class_f64_e32 vcc, v[52:53], v128
	s_nop 1
	v_cndmask_b32_e32 v53, v55, v53, vcc
	v_cndmask_b32_e32 v52, v54, v52, vcc
	v_mul_f64 v[52:53], v[56:57], v[52:53]
.LBB10_10:                              ;   in Loop: Header=BB10_6 Depth=1
	s_or_b64 exec, exec, s[34:35]
                                        ; implicit-def: $vgpr54_vgpr55
                                        ; implicit-def: $vgpr56_vgpr57
.LBB10_11:                              ;   in Loop: Header=BB10_6 Depth=1
	s_andn2_saveexec_b64 s[4:5], s[4:5]
	s_cbranch_execz .LBB10_4
; %bb.12:                               ;   in Loop: Header=BB10_6 Depth=1
	v_div_scale_f64 v[52:53], s[34:35], v[54:55], v[54:55], v[56:57]
	v_rcp_f64_e32 v[66:67], v[52:53]
	v_div_scale_f64 v[68:69], vcc, v[56:57], v[54:55], v[56:57]
	v_fma_f64 v[70:71], -v[52:53], v[66:67], 1.0
	v_fmac_f64_e32 v[66:67], v[66:67], v[70:71]
	v_fma_f64 v[70:71], -v[52:53], v[66:67], 1.0
	v_fmac_f64_e32 v[66:67], v[66:67], v[70:71]
	v_mul_f64 v[70:71], v[68:69], v[66:67]
	v_fma_f64 v[52:53], -v[52:53], v[70:71], v[68:69]
	v_div_fmas_f64 v[52:53], v[52:53], v[66:67], v[70:71]
	v_div_fixup_f64 v[52:53], v[52:53], v[54:55], v[56:57]
	v_fma_f64 v[52:53], v[52:53], v[52:53], 1.0
	v_cmp_gt_f64_e32 vcc, s[26:27], v[52:53]
	s_nop 1
	v_cndmask_b32_e32 v56, 0, v129, vcc
	v_ldexp_f64 v[52:53], v[52:53], v56
	v_rsq_f64_e32 v[56:57], v[52:53]
	s_nop 0
	v_mul_f64 v[66:67], v[52:53], v[56:57]
	v_mul_f64 v[56:57], v[56:57], 0.5
	v_fma_f64 v[68:69], -v[56:57], v[66:67], 0.5
	v_fmac_f64_e32 v[66:67], v[66:67], v[68:69]
	v_fma_f64 v[70:71], -v[66:67], v[66:67], v[52:53]
	v_fmac_f64_e32 v[56:57], v[56:57], v[68:69]
	v_fmac_f64_e32 v[66:67], v[70:71], v[56:57]
	v_fma_f64 v[68:69], -v[66:67], v[66:67], v[52:53]
	v_fmac_f64_e32 v[66:67], v[68:69], v[56:57]
	v_cndmask_b32_e32 v56, 0, v130, vcc
	v_ldexp_f64 v[56:57], v[66:67], v56
	v_cmp_class_f64_e32 vcc, v[52:53], v128
	s_nop 1
	v_cndmask_b32_e32 v53, v57, v53, vcc
	v_cndmask_b32_e32 v52, v56, v52, vcc
	v_mul_f64 v[52:53], v[54:55], v[52:53]
	s_branch .LBB10_4
.LBB10_13:
	s_mov_b32 s4, s33
.LBB10_14:
	s_mul_i32 s2, s4, s10
	v_add_u32_e32 v46, s2, v1
	v_add_u32_e32 v2, s10, v46
	v_ashrrev_i32_e32 v3, 31, v2
	s_waitcnt lgkmcnt(0)
	v_lshl_add_u64 v[30:31], v[2:3], 4, s[22:23]
	global_load_dwordx4 v[18:21], v[30:31], off
	s_waitcnt vmcnt(0)
	v_fma_f64 v[4:5], v[18:19], v[18:19], 0
	v_fma_f64 v[28:29], v[20:21], v[18:19], 0
	v_fma_f64 v[44:45], -v[20:21], v[20:21], v[4:5]
	v_fmac_f64_e32 v[28:29], v[18:19], v[20:21]
	v_cmp_neq_f64_e32 vcc, 0, v[44:45]
	v_cmp_neq_f64_e64 s[2:3], 0, v[28:29]
	s_or_b64 s[2:3], vcc, s[2:3]
	s_and_saveexec_b64 s[22:23], s[2:3]
	s_cbranch_execz .LBB10_22
; %bb.15:
	v_ashrrev_i32_e32 v47, 31, v46
	v_lshl_add_u64 v[40:41], v[46:47], 4, s[16:17]
	global_load_dwordx4 v[22:25], v[40:41], off
	s_mul_i32 s2, s4, s9
	v_add_u32_e32 v26, s2, v1
	v_lshlrev_b64 v[2:3], 4, v[2:3]
	v_add_u32_e32 v42, s9, v26
	v_lshl_add_u64 v[38:39], s[16:17], 0, v[2:3]
	v_ashrrev_i32_e32 v43, 31, v42
	v_lshl_add_u64 v[36:37], s[18:19], 0, v[2:3]
	v_lshl_add_u64 v[34:35], s[20:21], 0, v[2:3]
	global_load_dwordx4 v[14:17], v[38:39], off
	global_load_dwordx4 v[10:13], v[36:37], off
	;; [unrolled: 1-line block ×3, first 2 shown]
	v_lshl_add_u64 v[32:33], v[42:43], 4, s[6:7]
	global_load_dwordx4 v[2:5], v[32:33], off
                                        ; implicit-def: $vgpr54_vgpr55
	s_waitcnt vmcnt(4)
	v_fma_f64 v[48:49], v[22:23], v[22:23], v[44:45]
	v_fma_f64 v[56:57], v[24:25], v[22:23], v[28:29]
	v_fma_f64 v[48:49], -v[24:25], v[24:25], v[48:49]
	v_fmac_f64_e32 v[56:57], v[22:23], v[24:25]
	v_xor_b32_e32 v1, 0x80000000, v49
	v_xor_b32_e32 v27, 0x80000000, v57
	v_cmp_gt_f64_e32 vcc, 0, v[48:49]
	v_cmp_gt_f64_e64 s[2:3], 0, v[56:57]
	v_mov_b32_e32 v50, v48
	v_cndmask_b32_e32 v51, v49, v1, vcc
	v_cndmask_b32_e64 v53, v57, v27, s[2:3]
	v_mov_b32_e32 v52, v56
	v_cmp_ngt_f64_e32 vcc, v[50:51], v[52:53]
	s_and_saveexec_b64 s[4:5], vcc
	s_xor_b64 s[4:5], exec, s[4:5]
	s_cbranch_execz .LBB10_19
; %bb.16:
	v_mov_b64_e32 v[54:55], 0
	v_cmp_neq_f64_e32 vcc, 0, v[56:57]
	s_and_saveexec_b64 s[24:25], vcc
	s_cbranch_execz .LBB10_18
; %bb.17:
	v_div_scale_f64 v[54:55], s[26:27], v[52:53], v[52:53], v[50:51]
	v_rcp_f64_e32 v[56:57], v[54:55]
	v_div_scale_f64 v[58:59], vcc, v[50:51], v[52:53], v[50:51]
	s_mov_b32 s26, 0
	v_fma_f64 v[60:61], -v[54:55], v[56:57], 1.0
	v_fmac_f64_e32 v[56:57], v[56:57], v[60:61]
	v_fma_f64 v[60:61], -v[54:55], v[56:57], 1.0
	v_fmac_f64_e32 v[56:57], v[56:57], v[60:61]
	v_mul_f64 v[60:61], v[58:59], v[56:57]
	v_fma_f64 v[54:55], -v[54:55], v[60:61], v[58:59]
	v_div_fmas_f64 v[54:55], v[54:55], v[56:57], v[60:61]
	v_div_fixup_f64 v[50:51], v[54:55], v[52:53], v[50:51]
	v_fma_f64 v[50:51], v[50:51], v[50:51], 1.0
	s_brev_b32 s27, 8
	v_mov_b32_e32 v1, 0x100
	v_cmp_gt_f64_e32 vcc, s[26:27], v[50:51]
	s_nop 1
	v_cndmask_b32_e32 v1, 0, v1, vcc
	v_ldexp_f64 v[50:51], v[50:51], v1
	v_rsq_f64_e32 v[54:55], v[50:51]
	v_mov_b32_e32 v1, 0xffffff80
	v_cndmask_b32_e32 v1, 0, v1, vcc
	v_mul_f64 v[56:57], v[50:51], v[54:55]
	v_mul_f64 v[54:55], v[54:55], 0.5
	v_fma_f64 v[58:59], -v[54:55], v[56:57], 0.5
	v_fmac_f64_e32 v[56:57], v[56:57], v[58:59]
	v_fma_f64 v[60:61], -v[56:57], v[56:57], v[50:51]
	v_fmac_f64_e32 v[54:55], v[54:55], v[58:59]
	v_fmac_f64_e32 v[56:57], v[60:61], v[54:55]
	v_fma_f64 v[58:59], -v[56:57], v[56:57], v[50:51]
	v_fmac_f64_e32 v[56:57], v[58:59], v[54:55]
	v_ldexp_f64 v[54:55], v[56:57], v1
	v_mov_b32_e32 v1, 0x260
	v_cmp_class_f64_e32 vcc, v[50:51], v1
	s_nop 1
	v_cndmask_b32_e32 v51, v55, v51, vcc
	v_cndmask_b32_e32 v50, v54, v50, vcc
	v_mul_f64 v[54:55], v[52:53], v[50:51]
.LBB10_18:
	s_or_b64 exec, exec, s[24:25]
                                        ; implicit-def: $vgpr50_vgpr51
                                        ; implicit-def: $vgpr52_vgpr53
.LBB10_19:
	s_andn2_saveexec_b64 s[4:5], s[4:5]
	s_cbranch_execz .LBB10_21
; %bb.20:
	v_div_scale_f64 v[54:55], s[24:25], v[50:51], v[50:51], v[52:53]
	v_rcp_f64_e32 v[56:57], v[54:55]
	v_div_scale_f64 v[58:59], vcc, v[52:53], v[50:51], v[52:53]
	s_mov_b32 s24, 0
	v_fma_f64 v[60:61], -v[54:55], v[56:57], 1.0
	v_fmac_f64_e32 v[56:57], v[56:57], v[60:61]
	v_fma_f64 v[60:61], -v[54:55], v[56:57], 1.0
	v_fmac_f64_e32 v[56:57], v[56:57], v[60:61]
	v_mul_f64 v[60:61], v[58:59], v[56:57]
	v_fma_f64 v[54:55], -v[54:55], v[60:61], v[58:59]
	v_div_fmas_f64 v[54:55], v[54:55], v[56:57], v[60:61]
	v_div_fixup_f64 v[52:53], v[54:55], v[50:51], v[52:53]
	v_fma_f64 v[52:53], v[52:53], v[52:53], 1.0
	s_brev_b32 s25, 8
	v_mov_b32_e32 v1, 0x100
	v_cmp_gt_f64_e32 vcc, s[24:25], v[52:53]
	s_nop 1
	v_cndmask_b32_e32 v1, 0, v1, vcc
	v_ldexp_f64 v[52:53], v[52:53], v1
	v_rsq_f64_e32 v[54:55], v[52:53]
	v_mov_b32_e32 v1, 0xffffff80
	v_cndmask_b32_e32 v1, 0, v1, vcc
	v_mul_f64 v[56:57], v[52:53], v[54:55]
	v_mul_f64 v[54:55], v[54:55], 0.5
	v_fma_f64 v[58:59], -v[54:55], v[56:57], 0.5
	v_fmac_f64_e32 v[56:57], v[56:57], v[58:59]
	v_fma_f64 v[60:61], -v[56:57], v[56:57], v[52:53]
	v_fmac_f64_e32 v[54:55], v[54:55], v[58:59]
	v_fmac_f64_e32 v[56:57], v[60:61], v[54:55]
	v_fma_f64 v[58:59], -v[56:57], v[56:57], v[52:53]
	v_fmac_f64_e32 v[56:57], v[58:59], v[54:55]
	v_ldexp_f64 v[54:55], v[56:57], v1
	v_mov_b32_e32 v1, 0x260
	v_cmp_class_f64_e32 vcc, v[52:53], v1
	s_nop 1
	v_cndmask_b32_e32 v53, v55, v53, vcc
	v_cndmask_b32_e32 v52, v54, v52, vcc
	v_mul_f64 v[54:55], v[50:51], v[52:53]
.LBB10_21:
	s_or_b64 exec, exec, s[4:5]
	v_add_f64 v[50:51], v[48:49], v[54:55]
	s_mov_b32 s4, 0
	v_mul_f64 v[50:51], v[50:51], 0.5
	s_brev_b32 s5, 8
	v_mov_b32_e32 v1, 0x100
	v_cmp_gt_f64_e32 vcc, s[4:5], v[50:51]
	v_add_f64 v[48:49], v[54:55], -v[48:49]
	v_mul_f64 v[48:49], v[48:49], 0.5
	v_cndmask_b32_e32 v27, 0, v1, vcc
	v_ldexp_f64 v[50:51], v[50:51], v27
	v_rsq_f64_e32 v[52:53], v[50:51]
	v_mov_b32_e32 v27, 0xffffff80
	v_lshlrev_b64 v[62:63], 4, v[46:47]
	v_lshl_add_u64 v[46:47], s[18:19], 0, v[62:63]
	v_mul_f64 v[56:57], v[50:51], v[52:53]
	v_mul_f64 v[52:53], v[52:53], 0.5
	v_fma_f64 v[58:59], -v[52:53], v[56:57], 0.5
	v_fmac_f64_e32 v[56:57], v[56:57], v[58:59]
	v_fmac_f64_e32 v[52:53], v[52:53], v[58:59]
	v_fma_f64 v[58:59], -v[56:57], v[56:57], v[50:51]
	v_fmac_f64_e32 v[56:57], v[58:59], v[52:53]
	v_fma_f64 v[58:59], -v[56:57], v[56:57], v[50:51]
	v_fmac_f64_e32 v[56:57], v[58:59], v[52:53]
	v_cndmask_b32_e32 v52, 0, v27, vcc
	v_cmp_gt_f64_e32 vcc, s[4:5], v[48:49]
	v_mov_b32_e32 v58, 0x260
	v_ldexp_f64 v[52:53], v[56:57], v52
	v_cndmask_b32_e32 v1, 0, v1, vcc
	v_ldexp_f64 v[48:49], v[48:49], v1
	v_rsq_f64_e32 v[54:55], v[48:49]
	v_cmp_class_f64_e64 s[4:5], v[50:51], v58
	v_cndmask_b32_e32 v27, 0, v27, vcc
	v_cmp_class_f64_e32 vcc, v[48:49], v58
	v_cndmask_b32_e64 v50, v52, v50, s[4:5]
	v_cndmask_b32_e64 v1, v53, v51, s[4:5]
	v_mul_f64 v[52:53], v[48:49], v[54:55]
	v_mul_f64 v[54:55], v[54:55], 0.5
	v_fma_f64 v[56:57], -v[54:55], v[52:53], 0.5
	v_fmac_f64_e32 v[52:53], v[52:53], v[56:57]
	v_fmac_f64_e32 v[54:55], v[54:55], v[56:57]
	v_fma_f64 v[56:57], -v[52:53], v[52:53], v[48:49]
	v_fmac_f64_e32 v[52:53], v[56:57], v[54:55]
	v_fma_f64 v[56:57], -v[52:53], v[52:53], v[48:49]
	v_fmac_f64_e32 v[52:53], v[56:57], v[54:55]
	v_ldexp_f64 v[52:53], v[52:53], v27
	v_cndmask_b32_e32 v27, v53, v49, vcc
	v_cndmask_b32_e32 v52, v52, v48, vcc
	v_xor_b32_e32 v48, 0x80000000, v27
	v_cndmask_b32_e64 v27, v27, v48, s[2:3]
	v_xor_b32_e32 v48, 0x80000000, v1
	v_cmp_lt_f64_e32 vcc, 0, v[22:23]
	v_lshl_add_u64 v[42:43], v[42:43], 4, s[12:13]
	s_nop 0
	v_cndmask_b32_e32 v51, v48, v1, vcc
	v_xor_b32_e32 v1, 0x80000000, v27
	v_cndmask_b32_e32 v53, v1, v27, vcc
	v_add_f64 v[48:49], v[22:23], v[50:51]
	v_add_f64 v[50:51], v[24:25], v[52:53]
	v_mul_f64 v[52:53], v[50:51], v[50:51]
	v_fmac_f64_e32 v[52:53], v[48:49], v[48:49]
	v_div_scale_f64 v[56:57], s[2:3], v[52:53], v[52:53], 1.0
	v_rcp_f64_e32 v[54:55], v[56:57]
	v_mul_f64 v[76:77], v[48:49], v[50:51]
	v_mul_f64 v[74:75], v[50:51], -v[50:51]
	v_fmac_f64_e32 v[76:77], v[50:51], v[48:49]
	v_fma_f64 v[58:59], -v[56:57], v[54:55], 1.0
	v_fmac_f64_e32 v[54:55], v[54:55], v[58:59]
	global_load_dwordx4 v[58:61], v[46:47], off
	v_fmac_f64_e32 v[74:75], v[48:49], v[48:49]
	v_add_f64 v[80:81], v[28:29], v[76:77]
	v_add_f64 v[78:79], v[44:45], v[74:75]
	v_mul_f64 v[82:83], v[80:81], v[80:81]
	v_fmac_f64_e32 v[82:83], v[78:79], v[78:79]
	v_div_scale_f64 v[28:29], s[2:3], v[82:83], v[82:83], 1.0
	v_fma_f64 v[64:65], -v[56:57], v[54:55], 1.0
	v_rcp_f64_e32 v[70:71], v[28:29]
	v_fmac_f64_e32 v[54:55], v[54:55], v[64:65]
	v_div_scale_f64 v[66:67], vcc, 1.0, v[52:53], 1.0
	v_lshl_add_u64 v[44:45], s[20:21], 0, v[62:63]
	v_mul_f64 v[68:69], v[66:67], v[54:55]
	global_load_dwordx4 v[62:65], v[44:45], off
	v_fma_f64 v[56:57], -v[56:57], v[68:69], v[66:67]
	v_div_fmas_f64 v[66:67], v[56:57], v[54:55], v[68:69]
	v_fma_f64 v[54:55], -v[28:29], v[70:71], 1.0
	v_ashrrev_i32_e32 v27, 31, v26
	v_fmac_f64_e32 v[70:71], v[70:71], v[54:55]
	v_lshlrev_b64 v[84:85], 4, v[26:27]
	v_fma_f64 v[54:55], -v[28:29], v[70:71], 1.0
	v_lshl_add_u64 v[86:87], s[12:13], 0, v[84:85]
	v_fmac_f64_e32 v[70:71], v[70:71], v[54:55]
	global_load_dwordx4 v[54:57], v[86:87], off
	v_div_scale_f64 v[26:27], vcc, 1.0, v[82:83], 1.0
	v_mul_f64 v[68:69], v[26:27], v[70:71]
	s_mov_b32 s2, 0
	v_fma_f64 v[26:27], -v[28:29], v[68:69], v[26:27]
	s_brev_b32 s3, 1
	v_div_fmas_f64 v[88:89], v[26:27], v[70:71], v[68:69]
	v_mul_f64 v[26:27], v[20:21], v[50:51]
	v_mul_f64 v[28:29], v[50:51], -v[18:19]
	v_mul_f64 v[90:91], v[50:51], 0
	v_mul_f64 v[50:51], v[50:51], s[2:3]
	v_div_fixup_f64 v[52:53], v[66:67], v[52:53], 1.0
	v_fmac_f64_e32 v[26:27], v[18:19], v[48:49]
	v_fmac_f64_e32 v[28:29], v[20:21], v[48:49]
	;; [unrolled: 1-line block ×4, first 2 shown]
	v_mul_f64 v[26:27], v[26:27], v[52:53]
	v_mul_f64 v[28:29], v[28:29], v[52:53]
	v_lshl_add_u64 v[92:93], s[14:15], 0, v[84:85]
	v_mul_f64 v[90:91], v[90:91], v[52:53]
	v_mul_f64 v[50:51], v[50:51], v[52:53]
	v_add_f64 v[52:53], v[76:77], v[76:77]
	global_load_dwordx4 v[66:69], v[42:43], off
	global_load_dwordx4 v[70:73], v[92:93], off
	v_mul_f64 v[48:49], v[76:77], s[2:3]
	v_fmac_f64_e32 v[52:53], 0, v[74:75]
	v_fmac_f64_e32 v[48:49], 2.0, v[74:75]
	v_mul_f64 v[76:77], v[80:81], v[52:53]
	v_fmac_f64_e32 v[76:77], v[48:49], v[78:79]
	v_mul_f64 v[48:49], v[80:81], -v[48:49]
	v_div_fixup_f64 v[74:75], v[88:89], v[82:83], 1.0
	v_fmac_f64_e32 v[48:49], v[52:53], v[78:79]
	v_mul_f64 v[52:53], v[74:75], v[48:49]
	v_fma_f64 v[48:49], v[26:27], v[18:19], v[22:23]
	v_fma_f64 v[18:19], v[28:29], v[18:19], v[24:25]
	v_fmac_f64_e32 v[18:19], v[26:27], v[20:21]
	v_fma_f64 v[48:49], -v[28:29], v[20:21], v[48:49]
	v_fmac_f64_e32 v[18:19], 0, v[50:51]
	v_fmac_f64_e32 v[48:49], 0, v[90:91]
	;; [unrolled: 1-line block ×3, first 2 shown]
	v_mul_f64 v[76:77], v[74:75], v[76:77]
	v_fmac_f64_e32 v[48:49], 0x80000000, v[50:51]
	v_mul_f64 v[20:21], v[52:53], -v[18:19]
	v_fmac_f64_e32 v[20:21], v[48:49], v[76:77]
	v_mul_f64 v[48:49], v[52:53], v[48:49]
	v_fmac_f64_e32 v[48:49], v[18:19], v[76:77]
	v_add_f64 v[18:19], v[22:23], -v[20:21]
	v_add_f64 v[20:21], v[24:25], -v[48:49]
	global_store_dwordx4 v[40:41], v[18:21], off
	v_lshl_add_u64 v[40:41], s[6:7], 0, v[84:85]
	global_load_dwordx4 v[18:21], v[40:41], off
	s_waitcnt vmcnt(6)
	v_fma_f64 v[22:23], v[26:27], v[14:15], v[58:59]
	v_fma_f64 v[24:25], v[28:29], v[14:15], v[60:61]
	v_fma_f64 v[22:23], -v[28:29], v[16:17], v[22:23]
	v_fmac_f64_e32 v[24:25], v[26:27], v[16:17]
	v_fmac_f64_e32 v[22:23], 0, v[90:91]
	v_fmac_f64_e32 v[24:25], 0, v[50:51]
	v_fmac_f64_e32 v[22:23], 0x80000000, v[50:51]
	v_fmac_f64_e32 v[24:25], 0, v[90:91]
	v_mul_f64 v[74:75], v[52:53], -v[24:25]
	v_mul_f64 v[78:79], v[52:53], v[22:23]
	v_fmac_f64_e32 v[74:75], v[22:23], v[76:77]
	v_fmac_f64_e32 v[78:79], v[24:25], v[76:77]
	v_add_f64 v[22:23], v[58:59], -v[74:75]
	v_add_f64 v[24:25], v[60:61], -v[78:79]
	global_store_dwordx4 v[46:47], v[22:25], off
	s_waitcnt vmcnt(6)
	v_fma_f64 v[48:49], v[26:27], v[10:11], v[62:63]
	v_fma_f64 v[48:49], -v[28:29], v[12:13], v[48:49]
	v_fma_f64 v[22:23], v[28:29], v[10:11], v[64:65]
	v_fmac_f64_e32 v[22:23], v[26:27], v[12:13]
	v_fmac_f64_e32 v[48:49], 0, v[90:91]
	;; [unrolled: 1-line block ×5, first 2 shown]
	v_mul_f64 v[60:61], v[52:53], v[48:49]
	v_mul_f64 v[58:59], v[52:53], -v[22:23]
	v_fmac_f64_e32 v[60:61], v[22:23], v[76:77]
	s_waitcnt vmcnt(5)
	v_fma_f64 v[22:23], v[26:27], v[6:7], v[54:55]
	v_fma_f64 v[24:25], v[28:29], v[6:7], v[56:57]
	v_fma_f64 v[22:23], -v[28:29], v[8:9], v[22:23]
	v_fmac_f64_e32 v[24:25], v[26:27], v[8:9]
	v_fmac_f64_e32 v[22:23], 0, v[90:91]
	;; [unrolled: 1-line block ×5, first 2 shown]
	v_mul_f64 v[80:81], v[52:53], -v[24:25]
	v_mul_f64 v[82:83], v[52:53], v[22:23]
	v_fmac_f64_e32 v[80:81], v[22:23], v[76:77]
	v_fmac_f64_e32 v[82:83], v[24:25], v[76:77]
	v_add_f64 v[22:23], v[54:55], -v[80:81]
	v_add_f64 v[24:25], v[56:57], -v[82:83]
	global_store_dwordx4 v[86:87], v[22:25], off
	global_load_dwordx4 v[22:25], v[42:43], off
	v_fmac_f64_e32 v[58:59], v[48:49], v[76:77]
	v_add_f64 v[46:47], v[62:63], -v[58:59]
	v_add_f64 v[48:49], v[64:65], -v[60:61]
	global_store_dwordx4 v[44:45], v[46:49], off
	v_fma_f64 v[54:55], v[28:29], v[26:27], 0
	v_fmac_f64_e32 v[54:55], v[26:27], v[28:29]
	v_fmac_f64_e32 v[54:55], v[50:51], v[90:91]
	s_waitcnt vmcnt(6)
	v_fma_f64 v[46:47], v[28:29], v[66:67], v[72:73]
	v_fma_f64 v[44:45], v[26:27], v[66:67], v[70:71]
	v_fmac_f64_e32 v[46:47], v[26:27], v[68:69]
	v_fma_f64 v[44:45], -v[28:29], v[68:69], v[44:45]
	v_fmac_f64_e32 v[46:47], 0, v[50:51]
	v_fmac_f64_e32 v[44:45], 0, v[90:91]
	;; [unrolled: 1-line block ×4, first 2 shown]
	v_mul_f64 v[48:49], v[52:53], -v[46:47]
	v_fmac_f64_e32 v[48:49], v[44:45], v[76:77]
	v_mul_f64 v[52:53], v[52:53], v[44:45]
	v_fma_f64 v[44:45], v[26:27], v[26:27], 1.0
	v_fma_f64 v[44:45], -v[28:29], v[28:29], v[44:45]
	v_fmac_f64_e32 v[44:45], v[90:91], v[90:91]
	v_fmac_f64_e32 v[54:55], v[90:91], v[50:51]
	v_fma_f64 v[56:57], -v[50:51], v[50:51], v[44:45]
	v_mul_f64 v[62:63], v[54:55], v[54:55]
	v_fmac_f64_e32 v[62:63], v[56:57], v[56:57]
	v_div_scale_f64 v[64:65], s[2:3], v[62:63], v[62:63], 1.0
	v_rcp_f64_e32 v[66:67], v[64:65]
	v_fmac_f64_e32 v[52:53], v[46:47], v[76:77]
	v_add_f64 v[44:45], v[70:71], -v[48:49]
	v_add_f64 v[46:47], v[72:73], -v[52:53]
	global_store_dwordx4 v[92:93], v[44:47], off
	v_fma_f64 v[6:7], -v[80:81], v[26:27], v[6:7]
	v_fma_f64 v[8:9], -v[82:83], v[26:27], v[8:9]
	v_fma_f64 v[44:45], -v[64:65], v[66:67], 1.0
	v_fmac_f64_e32 v[66:67], v[66:67], v[44:45]
	v_fma_f64 v[44:45], -v[64:65], v[66:67], 1.0
	v_fmac_f64_e32 v[66:67], v[66:67], v[44:45]
	v_div_scale_f64 v[44:45], vcc, 1.0, v[62:63], 1.0
	v_mul_f64 v[46:47], v[44:45], v[66:67]
	v_fma_f64 v[44:45], -v[64:65], v[46:47], v[44:45]
	v_fmac_f64_e32 v[6:7], v[82:83], v[28:29]
	s_nop 0
	v_div_fmas_f64 v[44:45], v[44:45], v[66:67], v[46:47]
	v_mul_f64 v[46:47], v[54:55], 0
	v_mul_f64 v[54:55], v[54:55], -2.0
	v_div_fixup_f64 v[44:45], v[44:45], v[62:63], 1.0
	v_fmac_f64_e32 v[46:47], 2.0, v[56:57]
	v_fmac_f64_e32 v[54:55], 0, v[56:57]
	v_mul_f64 v[46:47], v[46:47], v[44:45]
	v_mul_f64 v[44:45], v[54:55], v[44:45]
	s_waitcnt vmcnt(5)
	v_fma_f64 v[54:55], v[26:27], v[2:3], v[18:19]
	v_fma_f64 v[56:57], v[28:29], v[2:3], v[20:21]
	v_fma_f64 v[54:55], -v[28:29], v[4:5], v[54:55]
	v_fmac_f64_e32 v[56:57], v[26:27], v[4:5]
	v_fmac_f64_e32 v[54:55], 0, v[90:91]
	;; [unrolled: 1-line block ×5, first 2 shown]
	v_mul_f64 v[50:51], v[44:45], -v[56:57]
	v_mul_f64 v[44:45], v[54:55], v[44:45]
	v_fmac_f64_e32 v[50:51], v[54:55], v[46:47]
	v_fmac_f64_e32 v[44:45], v[56:57], v[46:47]
	v_add_f64 v[18:19], v[18:19], -v[50:51]
	v_add_f64 v[20:21], v[20:21], -v[44:45]
	v_fma_f64 v[8:9], -v[80:81], v[28:29], v[8:9]
	global_store_dwordx4 v[40:41], v[18:21], off
	global_store_dwordx4 v[30:31], v[26:29], off
	v_fma_f64 v[14:15], -v[74:75], v[26:27], v[14:15]
	v_fma_f64 v[16:17], -v[78:79], v[26:27], v[16:17]
	;; [unrolled: 1-line block ×4, first 2 shown]
	global_store_dwordx4 v[34:35], v[6:9], off
	v_fma_f64 v[2:3], -v[26:27], v[50:51], v[2:3]
	v_fma_f64 v[4:5], -v[28:29], v[50:51], v[4:5]
	v_fmac_f64_e32 v[14:15], v[78:79], v[28:29]
	v_fma_f64 v[16:17], -v[74:75], v[28:29], v[16:17]
	v_fmac_f64_e32 v[10:11], v[60:61], v[28:29]
	v_fma_f64 v[12:13], -v[58:59], v[28:29], v[12:13]
	v_fmac_f64_e32 v[2:3], v[28:29], v[44:45]
	s_waitcnt vmcnt(5)
	v_fma_f64 v[6:7], -v[48:49], v[26:27], v[22:23]
	v_fma_f64 v[8:9], -v[52:53], v[26:27], v[24:25]
	v_fmac_f64_e32 v[6:7], v[52:53], v[28:29]
	v_fma_f64 v[8:9], -v[48:49], v[28:29], v[8:9]
	v_fma_f64 v[4:5], -v[26:27], v[44:45], v[4:5]
	global_store_dwordx4 v[38:39], v[14:17], off
	global_store_dwordx4 v[36:37], v[10:13], off
	;; [unrolled: 1-line block ×4, first 2 shown]
.LBB10_22:
	s_or_b64 exec, exec, s[22:23]
.LBB10_23:
	s_cmp_lt_i32 s8, 1
	s_cbranch_scc1 .LBB10_36
; %bb.24:
	s_mul_i32 s2, s10, s8
	v_add_u32_e32 v8, s2, v0
	s_add_i32 s2, s8, 3
	s_mul_i32 s2, s10, s2
	v_add_u32_e32 v9, s2, v0
	s_add_i32 s2, s8, 2
	s_mul_i32 s2, s10, s2
	s_load_dwordx2 s[0:1], s[0:1], 0x38
	v_add_u32_e32 v10, s2, v0
	s_add_i32 s2, s8, 1
	s_mul_i32 s2, s10, s2
	v_add_u32_e32 v11, s2, v0
	s_add_i32 s2, s8, -1
	s_mul_i32 s3, s10, s2
	s_mul_i32 s2, s9, s2
	v_add_u32_e32 v12, s3, v0
	v_add_u32_e32 v13, s2, v0
	s_mov_b32 s4, s8
	s_branch .LBB10_26
.LBB10_25:                              ;   in Loop: Header=BB10_26 Depth=1
	v_lshlrev_b64 v[18:19], 4, v[4:5]
	s_waitcnt lgkmcnt(0)
	v_lshl_add_u64 v[6:7], v[6:7], 4, s[6:7]
	v_lshl_add_u64 v[4:5], s[16:17], 0, v[18:19]
	global_load_dwordx4 v[14:17], v[6:7], off
	s_add_i32 s5, s4, -1
	global_load_dwordx4 v[4:7], v[4:5], off
	v_subrev_u32_e32 v8, s10, v8
	v_subrev_u32_e32 v9, s10, v9
	;; [unrolled: 1-line block ×6, first 2 shown]
	v_lshl_add_u64 v[18:19], s[0:1], 0, v[18:19]
	s_cmp_gt_u32 s4, 1
	s_mov_b32 s4, s5
	s_waitcnt vmcnt(1)
	v_add_f64 v[2:3], v[14:15], -v[2:3]
	v_add_f64 v[0:1], v[16:17], -v[0:1]
	s_waitcnt vmcnt(0)
	v_mul_f64 v[14:15], v[6:7], v[6:7]
	v_mul_f64 v[16:17], v[0:1], v[6:7]
	v_fmac_f64_e32 v[14:15], v[4:5], v[4:5]
	v_mul_f64 v[6:7], v[6:7], -v[2:3]
	v_fmac_f64_e32 v[16:17], v[2:3], v[4:5]
	v_div_scale_f64 v[2:3], s[2:3], v[14:15], v[14:15], 1.0
	v_rcp_f64_e32 v[20:21], v[2:3]
	v_fmac_f64_e32 v[6:7], v[0:1], v[4:5]
	v_div_scale_f64 v[0:1], vcc, 1.0, v[14:15], 1.0
	v_fma_f64 v[4:5], -v[2:3], v[20:21], 1.0
	v_fmac_f64_e32 v[20:21], v[20:21], v[4:5]
	v_fma_f64 v[4:5], -v[2:3], v[20:21], 1.0
	v_fmac_f64_e32 v[20:21], v[20:21], v[4:5]
	v_mul_f64 v[4:5], v[0:1], v[20:21]
	v_fma_f64 v[0:1], -v[2:3], v[4:5], v[0:1]
	v_div_fmas_f64 v[0:1], v[0:1], v[20:21], v[4:5]
	v_div_fixup_f64 v[2:3], v[0:1], v[14:15], 1.0
	v_mul_f64 v[0:1], v[16:17], v[2:3]
	v_mul_f64 v[2:3], v[6:7], v[2:3]
	global_store_dwordx4 v[18:19], v[0:3], off
	s_cbranch_scc0 .LBB10_36
.LBB10_26:                              ; =>This Inner Loop Header: Depth=1
	v_add_u32_e32 v4, s11, v12
	v_mov_b64_e32 v[0:1], 0
	s_cmp_ge_i32 s4, s8
	v_ashrrev_i32_e32 v5, 31, v4
	v_mov_b64_e32 v[2:3], 0
	s_cbranch_scc1 .LBB10_28
; %bb.27:                               ;   in Loop: Header=BB10_26 Depth=1
	v_add_u32_e32 v0, s11, v8
	s_waitcnt lgkmcnt(0)
	v_lshl_add_u64 v[6:7], v[4:5], 4, s[18:19]
	v_ashrrev_i32_e32 v1, 31, v0
	v_lshl_add_u64 v[18:19], v[0:1], 4, s[0:1]
	global_load_dwordx4 v[0:3], v[6:7], off
	global_load_dwordx4 v[14:17], v[18:19], off
	s_waitcnt vmcnt(0)
	v_mul_f64 v[6:7], v[16:17], -v[2:3]
	v_mul_f64 v[16:17], v[16:17], v[0:1]
	v_fmac_f64_e32 v[6:7], v[0:1], v[14:15]
	v_fmac_f64_e32 v[16:17], v[2:3], v[14:15]
	v_add_f64 v[2:3], v[6:7], 0
	v_add_f64 v[0:1], v[16:17], 0
.LBB10_28:                              ;   in Loop: Header=BB10_26 Depth=1
	s_add_i32 s5, s4, 1
	s_cmp_ge_i32 s5, s8
	s_cbranch_scc1 .LBB10_30
; %bb.29:                               ;   in Loop: Header=BB10_26 Depth=1
	v_add_u32_e32 v14, s11, v11
	s_waitcnt lgkmcnt(0)
	v_lshl_add_u64 v[6:7], v[4:5], 4, s[20:21]
	v_ashrrev_i32_e32 v15, 31, v14
	v_lshl_add_u64 v[22:23], v[14:15], 4, s[0:1]
	global_load_dwordx4 v[14:17], v[6:7], off
	global_load_dwordx4 v[18:21], v[22:23], off
	s_waitcnt vmcnt(0)
	v_mul_f64 v[6:7], v[20:21], -v[16:17]
	v_mul_f64 v[20:21], v[20:21], v[14:15]
	v_fmac_f64_e32 v[6:7], v[14:15], v[18:19]
	v_fmac_f64_e32 v[20:21], v[16:17], v[18:19]
	v_add_f64 v[2:3], v[2:3], v[6:7]
	v_add_f64 v[0:1], v[0:1], v[20:21]
.LBB10_30:                              ;   in Loop: Header=BB10_26 Depth=1
	s_add_i32 s5, s5, 1
	v_add_u32_e32 v6, s11, v13
	s_cmp_lt_i32 s5, s8
	s_mov_b64 s[2:3], -1
	s_cbranch_scc0 .LBB10_33
; %bb.31:                               ;   in Loop: Header=BB10_26 Depth=1
	s_andn2_b64 vcc, exec, s[2:3]
	s_cbranch_vccz .LBB10_34
.LBB10_32:                              ;   in Loop: Header=BB10_26 Depth=1
	s_add_i32 s5, s5, 1
	s_cmp_ge_i32 s5, s8
	s_cbranch_scc1 .LBB10_25
	s_branch .LBB10_35
.LBB10_33:                              ;   in Loop: Header=BB10_26 Depth=1
	v_ashrrev_i32_e32 v7, 31, v6
	s_cbranch_execnz .LBB10_32
.LBB10_34:                              ;   in Loop: Header=BB10_26 Depth=1
	v_ashrrev_i32_e32 v7, 31, v6
	v_add_u32_e32 v14, s11, v10
	s_waitcnt lgkmcnt(0)
	v_lshl_add_u64 v[22:23], v[6:7], 4, s[12:13]
	v_ashrrev_i32_e32 v15, 31, v14
	v_lshl_add_u64 v[24:25], v[14:15], 4, s[0:1]
	global_load_dwordx4 v[14:17], v[22:23], off
	global_load_dwordx4 v[18:21], v[24:25], off
	s_waitcnt vmcnt(0)
	v_mul_f64 v[22:23], v[20:21], -v[16:17]
	v_mul_f64 v[20:21], v[20:21], v[14:15]
	v_fmac_f64_e32 v[22:23], v[14:15], v[18:19]
	v_fmac_f64_e32 v[20:21], v[16:17], v[18:19]
	v_add_f64 v[2:3], v[2:3], v[22:23]
	v_add_f64 v[0:1], v[0:1], v[20:21]
	s_add_i32 s5, s5, 1
	s_cmp_ge_i32 s5, s8
	s_cbranch_scc1 .LBB10_25
.LBB10_35:                              ;   in Loop: Header=BB10_26 Depth=1
	v_add_u32_e32 v14, s11, v9
	s_waitcnt lgkmcnt(0)
	v_lshl_add_u64 v[22:23], v[6:7], 4, s[14:15]
	v_ashrrev_i32_e32 v15, 31, v14
	v_lshl_add_u64 v[24:25], v[14:15], 4, s[0:1]
	global_load_dwordx4 v[14:17], v[22:23], off
	global_load_dwordx4 v[18:21], v[24:25], off
	s_waitcnt vmcnt(0)
	v_mul_f64 v[22:23], v[20:21], -v[16:17]
	v_mul_f64 v[20:21], v[20:21], v[14:15]
	v_fmac_f64_e32 v[22:23], v[14:15], v[18:19]
	v_fmac_f64_e32 v[20:21], v[16:17], v[18:19]
	v_add_f64 v[2:3], v[2:3], v[22:23]
	v_add_f64 v[0:1], v[0:1], v[20:21]
	s_branch .LBB10_25
.LBB10_36:
	s_endpgm
	.section	.rodata,"a",@progbits
	.p2align	6, 0x0
	.amdhsa_kernel _ZN9rocsparseL44gpsv_interleaved_batch_householder_qr_kernelILj256E21rocsparse_complex_numIdEEEviiiPT0_S4_S4_S4_S4_S4_S4_S4_S4_
		.amdhsa_group_segment_fixed_size 0
		.amdhsa_private_segment_fixed_size 0
		.amdhsa_kernarg_size 344
		.amdhsa_user_sgpr_count 2
		.amdhsa_user_sgpr_dispatch_ptr 0
		.amdhsa_user_sgpr_queue_ptr 0
		.amdhsa_user_sgpr_kernarg_segment_ptr 1
		.amdhsa_user_sgpr_dispatch_id 0
		.amdhsa_user_sgpr_kernarg_preload_length 0
		.amdhsa_user_sgpr_kernarg_preload_offset 0
		.amdhsa_user_sgpr_private_segment_size 0
		.amdhsa_uses_dynamic_stack 0
		.amdhsa_enable_private_segment 0
		.amdhsa_system_sgpr_workgroup_id_x 1
		.amdhsa_system_sgpr_workgroup_id_y 0
		.amdhsa_system_sgpr_workgroup_id_z 0
		.amdhsa_system_sgpr_workgroup_info 0
		.amdhsa_system_vgpr_workitem_id 0
		.amdhsa_next_free_vgpr 146
		.amdhsa_next_free_sgpr 40
		.amdhsa_accum_offset 148
		.amdhsa_reserve_vcc 1
		.amdhsa_float_round_mode_32 0
		.amdhsa_float_round_mode_16_64 0
		.amdhsa_float_denorm_mode_32 3
		.amdhsa_float_denorm_mode_16_64 3
		.amdhsa_dx10_clamp 1
		.amdhsa_ieee_mode 1
		.amdhsa_fp16_overflow 0
		.amdhsa_tg_split 0
		.amdhsa_exception_fp_ieee_invalid_op 0
		.amdhsa_exception_fp_denorm_src 0
		.amdhsa_exception_fp_ieee_div_zero 0
		.amdhsa_exception_fp_ieee_overflow 0
		.amdhsa_exception_fp_ieee_underflow 0
		.amdhsa_exception_fp_ieee_inexact 0
		.amdhsa_exception_int_div_zero 0
	.end_amdhsa_kernel
	.section	.text._ZN9rocsparseL44gpsv_interleaved_batch_householder_qr_kernelILj256E21rocsparse_complex_numIdEEEviiiPT0_S4_S4_S4_S4_S4_S4_S4_S4_,"axG",@progbits,_ZN9rocsparseL44gpsv_interleaved_batch_householder_qr_kernelILj256E21rocsparse_complex_numIdEEEviiiPT0_S4_S4_S4_S4_S4_S4_S4_S4_,comdat
.Lfunc_end10:
	.size	_ZN9rocsparseL44gpsv_interleaved_batch_householder_qr_kernelILj256E21rocsparse_complex_numIdEEEviiiPT0_S4_S4_S4_S4_S4_S4_S4_S4_, .Lfunc_end10-_ZN9rocsparseL44gpsv_interleaved_batch_householder_qr_kernelILj256E21rocsparse_complex_numIdEEEviiiPT0_S4_S4_S4_S4_S4_S4_S4_S4_
                                        ; -- End function
	.set _ZN9rocsparseL44gpsv_interleaved_batch_householder_qr_kernelILj256E21rocsparse_complex_numIdEEEviiiPT0_S4_S4_S4_S4_S4_S4_S4_S4_.num_vgpr, 146
	.set _ZN9rocsparseL44gpsv_interleaved_batch_householder_qr_kernelILj256E21rocsparse_complex_numIdEEEviiiPT0_S4_S4_S4_S4_S4_S4_S4_S4_.num_agpr, 0
	.set _ZN9rocsparseL44gpsv_interleaved_batch_householder_qr_kernelILj256E21rocsparse_complex_numIdEEEviiiPT0_S4_S4_S4_S4_S4_S4_S4_S4_.numbered_sgpr, 40
	.set _ZN9rocsparseL44gpsv_interleaved_batch_householder_qr_kernelILj256E21rocsparse_complex_numIdEEEviiiPT0_S4_S4_S4_S4_S4_S4_S4_S4_.num_named_barrier, 0
	.set _ZN9rocsparseL44gpsv_interleaved_batch_householder_qr_kernelILj256E21rocsparse_complex_numIdEEEviiiPT0_S4_S4_S4_S4_S4_S4_S4_S4_.private_seg_size, 0
	.set _ZN9rocsparseL44gpsv_interleaved_batch_householder_qr_kernelILj256E21rocsparse_complex_numIdEEEviiiPT0_S4_S4_S4_S4_S4_S4_S4_S4_.uses_vcc, 1
	.set _ZN9rocsparseL44gpsv_interleaved_batch_householder_qr_kernelILj256E21rocsparse_complex_numIdEEEviiiPT0_S4_S4_S4_S4_S4_S4_S4_S4_.uses_flat_scratch, 0
	.set _ZN9rocsparseL44gpsv_interleaved_batch_householder_qr_kernelILj256E21rocsparse_complex_numIdEEEviiiPT0_S4_S4_S4_S4_S4_S4_S4_S4_.has_dyn_sized_stack, 0
	.set _ZN9rocsparseL44gpsv_interleaved_batch_householder_qr_kernelILj256E21rocsparse_complex_numIdEEEviiiPT0_S4_S4_S4_S4_S4_S4_S4_S4_.has_recursion, 0
	.set _ZN9rocsparseL44gpsv_interleaved_batch_householder_qr_kernelILj256E21rocsparse_complex_numIdEEEviiiPT0_S4_S4_S4_S4_S4_S4_S4_S4_.has_indirect_call, 0
	.section	.AMDGPU.csdata,"",@progbits
; Kernel info:
; codeLenInByte = 6468
; TotalNumSgprs: 46
; NumVgprs: 146
; NumAgprs: 0
; TotalNumVgprs: 146
; ScratchSize: 0
; MemoryBound: 0
; FloatMode: 240
; IeeeMode: 1
; LDSByteSize: 0 bytes/workgroup (compile time only)
; SGPRBlocks: 5
; VGPRBlocks: 18
; NumSGPRsForWavesPerEU: 46
; NumVGPRsForWavesPerEU: 146
; AccumOffset: 148
; Occupancy: 3
; WaveLimiterHint : 0
; COMPUTE_PGM_RSRC2:SCRATCH_EN: 0
; COMPUTE_PGM_RSRC2:USER_SGPR: 2
; COMPUTE_PGM_RSRC2:TRAP_HANDLER: 0
; COMPUTE_PGM_RSRC2:TGID_X_EN: 1
; COMPUTE_PGM_RSRC2:TGID_Y_EN: 0
; COMPUTE_PGM_RSRC2:TGID_Z_EN: 0
; COMPUTE_PGM_RSRC2:TIDIG_COMP_CNT: 0
; COMPUTE_PGM_RSRC3_GFX90A:ACCUM_OFFSET: 36
; COMPUTE_PGM_RSRC3_GFX90A:TG_SPLIT: 0
	.section	.text._ZN9rocsparseL39gpsv_interleaved_batch_givens_qr_kernelILj128E21rocsparse_complex_numIdEEEviiiPT0_S4_S4_S4_S4_S4_S4_S4_,"axG",@progbits,_ZN9rocsparseL39gpsv_interleaved_batch_givens_qr_kernelILj128E21rocsparse_complex_numIdEEEviiiPT0_S4_S4_S4_S4_S4_S4_S4_,comdat
	.globl	_ZN9rocsparseL39gpsv_interleaved_batch_givens_qr_kernelILj128E21rocsparse_complex_numIdEEEviiiPT0_S4_S4_S4_S4_S4_S4_S4_ ; -- Begin function _ZN9rocsparseL39gpsv_interleaved_batch_givens_qr_kernelILj128E21rocsparse_complex_numIdEEEviiiPT0_S4_S4_S4_S4_S4_S4_S4_
	.p2align	8
	.type	_ZN9rocsparseL39gpsv_interleaved_batch_givens_qr_kernelILj128E21rocsparse_complex_numIdEEEviiiPT0_S4_S4_S4_S4_S4_S4_S4_,@function
_ZN9rocsparseL39gpsv_interleaved_batch_givens_qr_kernelILj128E21rocsparse_complex_numIdEEEviiiPT0_S4_S4_S4_S4_S4_S4_S4_: ; @_ZN9rocsparseL39gpsv_interleaved_batch_givens_qr_kernelILj128E21rocsparse_complex_numIdEEEviiiPT0_S4_S4_S4_S4_S4_S4_S4_
; %bb.0:
	s_load_dwordx4 s[12:15], s[0:1], 0x0
	s_waitcnt lgkmcnt(0)
	s_lshl_b32 s15, s2, 7
	v_or_b32_e32 v1, s15, v0
	v_cmp_gt_i32_e32 vcc, s13, v1
	s_and_saveexec_b64 s[2:3], vcc
	s_cbranch_execz .LBB11_25
; %bb.1:
	s_load_dwordx2 s[2:3], s[0:1], 0x48
	s_load_dwordx4 s[16:19], s[0:1], 0x38
	s_load_dwordx8 s[4:11], s[0:1], 0x18
	s_add_i32 s28, s12, -2
	s_cmp_lt_i32 s12, 3
	s_cbranch_scc1 .LBB11_16
; %bb.2:
	s_load_dwordx2 s[0:1], s[0:1], 0x10
	s_mov_b32 s20, 0
	s_mov_b32 s22, 0
	s_lshl_b32 s29, s14, 1
	s_brev_b32 s21, 8
	v_mov_b32_e32 v72, 0x260
	s_brev_b32 s23, 1
	v_mov_b32_e32 v73, 0x100
	v_mov_b32_e32 v74, 0xffffff80
	;; [unrolled: 1-line block ×3, first 2 shown]
	s_mov_b32 s30, s28
	v_mov_b32_e32 v44, v1
	s_branch .LBB11_4
.LBB11_3:                               ;   in Loop: Header=BB11_4 Depth=1
	s_or_b64 exec, exec, s[24:25]
	v_cmp_gt_f64_e32 vcc, s[20:21], v[68:69]
	v_lshl_add_u64 v[46:47], v[46:47], 4, s[2:3]
	s_add_i32 s30, s30, -1
	v_cndmask_b32_e32 v41, 0, v73, vcc
	v_ldexp_f64 v[64:65], v[68:69], v41
	v_rsq_f64_e32 v[66:67], v[64:65]
	v_cndmask_b32_e32 v41, 0, v74, vcc
	v_cmp_class_f64_e32 vcc, v[64:65], v72
	s_cmp_eq_u32 s30, 0
	v_mul_f64 v[68:69], v[64:65], v[66:67]
	v_mul_f64 v[66:67], v[66:67], 0.5
	v_fma_f64 v[70:71], -v[66:67], v[68:69], 0.5
	v_fmac_f64_e32 v[68:69], v[68:69], v[70:71]
	v_fmac_f64_e32 v[66:67], v[66:67], v[70:71]
	v_fma_f64 v[70:71], -v[68:69], v[68:69], v[64:65]
	v_fmac_f64_e32 v[68:69], v[70:71], v[66:67]
	v_fma_f64 v[70:71], -v[68:69], v[68:69], v[64:65]
	v_fmac_f64_e32 v[68:69], v[70:71], v[66:67]
	v_ldexp_f64 v[66:67], v[68:69], v41
	v_cndmask_b32_e32 v65, v67, v65, vcc
	v_cndmask_b32_e32 v64, v66, v64, vcc
	v_fma_f64 v[66:67], v[64:65], v[64:65], 0
	v_div_scale_f64 v[68:69], s[24:25], v[66:67], v[66:67], 1.0
	v_rcp_f64_e32 v[70:71], v[68:69]
	s_nop 0
	v_fma_f64 v[76:77], -v[68:69], v[70:71], 1.0
	v_fmac_f64_e32 v[70:71], v[70:71], v[76:77]
	v_fma_f64 v[76:77], -v[68:69], v[70:71], 1.0
	v_fmac_f64_e32 v[70:71], v[70:71], v[76:77]
	v_div_scale_f64 v[76:77], vcc, 1.0, v[66:67], 1.0
	v_mul_f64 v[78:79], v[76:77], v[70:71]
	v_fma_f64 v[68:69], -v[68:69], v[78:79], v[76:77]
	s_nop 1
	v_div_fmas_f64 v[68:69], v[68:69], v[70:71], v[78:79]
	v_div_fixup_f64 v[68:69], v[68:69], v[66:67], 1.0
	v_mul_f64 v[66:67], v[20:21], s[22:23]
	v_fmac_f64_e32 v[66:67], v[18:19], v[64:65]
	v_mul_f64 v[70:71], v[66:67], v[68:69]
	v_mul_f64 v[66:67], v[18:19], s[22:23]
	v_fma_f64 v[66:67], -v[20:21], v[64:65], v[66:67]
	v_mul_f64 v[76:77], v[66:67], v[68:69]
	v_mul_f64 v[78:79], v[76:77], -v[20:21]
	v_mul_f64 v[66:67], v[18:19], v[76:77]
	v_fmac_f64_e32 v[78:79], v[18:19], v[70:71]
	v_fmac_f64_e32 v[66:67], v[20:21], v[70:71]
	v_mul_f64 v[18:19], v[36:37], s[22:23]
	v_mul_f64 v[20:21], v[34:35], s[22:23]
	v_fmac_f64_e32 v[18:19], v[34:35], v[64:65]
	v_fma_f64 v[20:21], -v[36:37], v[64:65], v[20:21]
	v_mul_f64 v[80:81], v[18:19], v[68:69]
	v_mul_f64 v[68:69], v[20:21], v[68:69]
	;; [unrolled: 1-line block ×3, first 2 shown]
	v_fmac_f64_e32 v[66:67], v[36:37], v[80:81]
	v_fmac_f64_e32 v[18:19], v[2:3], v[80:81]
	v_fmac_f64_e32 v[78:79], v[34:35], v[80:81]
	v_fmac_f64_e32 v[66:67], v[34:35], v[68:69]
	s_waitcnt vmcnt(4)
	v_fma_f64 v[34:35], -v[30:31], v[70:71], v[18:19]
	global_load_dwordx4 v[18:21], v[38:39], off
	v_fma_f64 v[64:65], -v[36:37], v[68:69], v[78:79]
	global_store_dwordx4 v[62:63], v[64:67], off
	global_load_dwordx4 v[62:65], v[46:47], off
	v_mul_f64 v[36:37], v[2:3], -v[68:69]
	v_fmac_f64_e32 v[36:37], v[4:5], v[80:81]
	v_fma_f64 v[36:37], -v[32:33], v[70:71], v[36:37]
	v_fma_f64 v[34:35], v[32:33], -v[76:77], v[34:35]
	v_fmac_f64_e32 v[36:37], v[30:31], v[76:77]
	global_store_dwordx4 v[52:53], v[34:37], off
	s_nop 1
	v_mul_f64 v[34:35], v[76:77], -v[4:5]
	v_mul_f64 v[36:37], v[2:3], v[76:77]
	v_fmac_f64_e32 v[34:35], v[2:3], v[70:71]
	v_fmac_f64_e32 v[36:37], v[4:5], v[70:71]
	v_mul_f64 v[2:3], v[8:9], v[68:69]
	v_mul_f64 v[4:5], v[6:7], -v[68:69]
	v_fmac_f64_e32 v[2:3], v[6:7], v[80:81]
	v_fmac_f64_e32 v[4:5], v[8:9], v[80:81]
	;; [unrolled: 1-line block ×4, first 2 shown]
	s_waitcnt vmcnt(7)
	v_fma_f64 v[2:3], -v[26:27], v[70:71], v[2:3]
	v_fma_f64 v[4:5], -v[28:29], v[70:71], v[4:5]
	;; [unrolled: 1-line block ×3, first 2 shown]
	v_fmac_f64_e32 v[36:37], v[30:31], v[68:69]
	v_fma_f64 v[2:3], v[28:29], -v[76:77], v[2:3]
	v_fmac_f64_e32 v[4:5], v[26:27], v[76:77]
	global_store_dwordx4 v[60:61], v[34:37], off
	global_store_dwordx4 v[50:51], v[2:5], off
	s_nop 1
	v_mul_f64 v[2:3], v[76:77], -v[8:9]
	v_mul_f64 v[4:5], v[6:7], v[76:77]
	v_fmac_f64_e32 v[2:3], v[6:7], v[70:71]
	v_fmac_f64_e32 v[4:5], v[8:9], v[70:71]
	;; [unrolled: 1-line block ×4, first 2 shown]
	v_fma_f64 v[2:3], -v[28:29], v[68:69], v[2:3]
	v_fmac_f64_e32 v[4:5], v[26:27], v[68:69]
	global_store_dwordx4 v[58:59], v[2:5], off
	v_lshl_add_u64 v[6:7], v[44:45], 4, s[18:19]
	v_mov_b32_e32 v44, v40
	v_mul_f64 v[2:3], v[12:13], v[68:69]
	v_mul_f64 v[4:5], v[10:11], -v[68:69]
	v_fmac_f64_e32 v[2:3], v[10:11], v[80:81]
	v_fmac_f64_e32 v[4:5], v[12:13], v[80:81]
	s_waitcnt vmcnt(9)
	v_fma_f64 v[2:3], -v[22:23], v[70:71], v[2:3]
	v_fma_f64 v[4:5], -v[24:25], v[70:71], v[4:5]
	v_fma_f64 v[2:3], v[24:25], -v[76:77], v[2:3]
	v_fmac_f64_e32 v[4:5], v[22:23], v[76:77]
	global_store_dwordx4 v[48:49], v[2:5], off
	s_nop 1
	v_mul_f64 v[2:3], v[76:77], -v[12:13]
	v_mul_f64 v[4:5], v[10:11], v[76:77]
	v_fmac_f64_e32 v[2:3], v[10:11], v[70:71]
	v_fmac_f64_e32 v[4:5], v[12:13], v[70:71]
	;; [unrolled: 1-line block ×4, first 2 shown]
	v_fma_f64 v[2:3], -v[24:25], v[68:69], v[2:3]
	v_fmac_f64_e32 v[4:5], v[22:23], v[68:69]
	global_store_dwordx4 v[56:57], v[2:5], off
	s_nop 1
	v_mul_f64 v[2:3], v[16:17], v[68:69]
	v_mul_f64 v[4:5], v[14:15], -v[68:69]
	v_fmac_f64_e32 v[2:3], v[14:15], v[80:81]
	v_fmac_f64_e32 v[4:5], v[16:17], v[80:81]
	global_store_dwordx4 v[54:55], v[2:5], off
	s_nop 1
	v_mul_f64 v[2:3], v[76:77], -v[16:17]
	v_mul_f64 v[4:5], v[14:15], v[76:77]
	v_fmac_f64_e32 v[2:3], v[14:15], v[70:71]
	v_fmac_f64_e32 v[4:5], v[16:17], v[70:71]
	global_store_dwordx4 v[6:7], v[2:5], off
	s_waitcnt vmcnt(10)
	s_nop 0
	v_mul_f64 v[2:3], v[76:77], -v[20:21]
	v_mul_f64 v[4:5], v[76:77], v[18:19]
	v_fmac_f64_e32 v[2:3], v[18:19], v[70:71]
	v_fmac_f64_e32 v[4:5], v[20:21], v[70:71]
	s_waitcnt vmcnt(8)
	v_fmac_f64_e32 v[2:3], v[62:63], v[80:81]
	v_fmac_f64_e32 v[4:5], v[64:65], v[80:81]
	v_fma_f64 v[2:3], -v[64:65], v[68:69], v[2:3]
	v_fmac_f64_e32 v[4:5], v[62:63], v[68:69]
	global_store_dwordx4 v[46:47], v[2:5], off
	v_mov_b32_e32 v46, v42
	s_nop 0
	v_mul_f64 v[2:3], v[68:69], v[20:21]
	v_mul_f64 v[4:5], v[18:19], -v[68:69]
	v_fmac_f64_e32 v[2:3], v[18:19], v[80:81]
	v_fmac_f64_e32 v[4:5], v[20:21], v[80:81]
	v_fma_f64 v[2:3], -v[62:63], v[70:71], v[2:3]
	v_fma_f64 v[4:5], -v[64:65], v[70:71], v[4:5]
	v_fma_f64 v[2:3], v[64:65], -v[76:77], v[2:3]
	v_fmac_f64_e32 v[4:5], v[62:63], v[76:77]
	global_store_dwordx4 v[38:39], v[2:5], off
	s_cbranch_scc1 .LBB11_16
.LBB11_4:                               ; =>This Inner Loop Header: Depth=1
	v_add_u32_e32 v58, s29, v46
	v_ashrrev_i32_e32 v59, 31, v58
	v_lshlrev_b64 v[18:19], 4, v[58:59]
	v_add_u32_e32 v42, s14, v46
	s_waitcnt lgkmcnt(0)
	v_lshl_add_u64 v[2:3], s[0:1], 0, v[18:19]
	global_load_dwordx4 v[2:5], v[2:3], off
	v_ashrrev_i32_e32 v43, 31, v42
	v_lshlrev_b64 v[20:21], 4, v[42:43]
	v_lshl_add_u64 v[64:65], s[4:5], 0, v[20:21]
	v_lshl_add_u64 v[62:63], s[4:5], 0, v[18:19]
	global_load_dwordx4 v[38:41], v[64:65], off
	global_load_dwordx4 v[34:37], v[62:63], off
	v_lshl_add_u64 v[52:53], s[6:7], 0, v[20:21]
	v_lshl_add_u64 v[50:51], s[8:9], 0, v[20:21]
	;; [unrolled: 1-line block ×4, first 2 shown]
	global_load_dwordx4 v[6:9], v[52:53], off
	global_load_dwordx4 v[30:33], v[60:61], off
	v_lshl_add_u64 v[56:57], s[8:9], 0, v[18:19]
	global_load_dwordx4 v[10:13], v[50:51], off
	global_load_dwordx4 v[14:17], v[56:57], off
	v_lshl_add_u64 v[54:55], s[10:11], 0, v[18:19]
	global_load_dwordx4 v[26:29], v[48:49], off
	global_load_dwordx4 v[22:25], v[54:55], off
                                        ; implicit-def: $vgpr66_vgpr67
	s_waitcnt vmcnt(8)
	v_mul_f64 v[20:21], v[2:3], -v[4:5]
	v_fmac_f64_e32 v[20:21], v[4:5], v[2:3]
	v_mul_f64 v[18:19], v[4:5], v[4:5]
	v_fmac_f64_e32 v[18:19], v[2:3], v[2:3]
	s_waitcnt vmcnt(7)
	v_fmac_f64_e32 v[20:21], v[40:41], v[38:39]
	v_fma_f64 v[68:69], v[38:39], -v[40:41], v[20:21]
	v_fmac_f64_e32 v[18:19], v[38:39], v[38:39]
	v_xor_b32_e32 v20, 0x80000000, v69
	v_cmp_gt_f64_e32 vcc, 0, v[68:69]
	v_fmac_f64_e32 v[18:19], v[40:41], v[40:41]
	s_nop 0
	v_cndmask_b32_e32 v21, v69, v20, vcc
	v_mov_b32_e32 v20, v68
	v_cmp_ngt_f64_e32 vcc, v[18:19], v[20:21]
	s_and_saveexec_b64 s[24:25], vcc
	s_xor_b64 s[24:25], exec, s[24:25]
	s_cbranch_execz .LBB11_8
; %bb.5:                                ;   in Loop: Header=BB11_4 Depth=1
	v_mov_b64_e32 v[66:67], 0
	v_cmp_neq_f64_e32 vcc, 0, v[68:69]
	s_and_saveexec_b64 s[26:27], vcc
	s_cbranch_execz .LBB11_7
; %bb.6:                                ;   in Loop: Header=BB11_4 Depth=1
	v_div_scale_f64 v[66:67], s[34:35], v[20:21], v[20:21], v[18:19]
	v_rcp_f64_e32 v[68:69], v[66:67]
	v_div_scale_f64 v[70:71], vcc, v[18:19], v[20:21], v[18:19]
	v_fma_f64 v[76:77], -v[66:67], v[68:69], 1.0
	v_fmac_f64_e32 v[68:69], v[68:69], v[76:77]
	v_fma_f64 v[76:77], -v[66:67], v[68:69], 1.0
	v_fmac_f64_e32 v[68:69], v[68:69], v[76:77]
	v_mul_f64 v[76:77], v[70:71], v[68:69]
	v_fma_f64 v[66:67], -v[66:67], v[76:77], v[70:71]
	v_div_fmas_f64 v[66:67], v[66:67], v[68:69], v[76:77]
	v_div_fixup_f64 v[18:19], v[66:67], v[20:21], v[18:19]
	v_fma_f64 v[18:19], v[18:19], v[18:19], 1.0
	v_cmp_gt_f64_e32 vcc, s[20:21], v[18:19]
	s_nop 1
	v_cndmask_b32_e32 v45, 0, v73, vcc
	v_ldexp_f64 v[18:19], v[18:19], v45
	v_rsq_f64_e32 v[66:67], v[18:19]
	v_cndmask_b32_e32 v45, 0, v74, vcc
	v_cmp_class_f64_e32 vcc, v[18:19], v72
	v_mul_f64 v[68:69], v[18:19], v[66:67]
	v_mul_f64 v[66:67], v[66:67], 0.5
	v_fma_f64 v[70:71], -v[66:67], v[68:69], 0.5
	v_fmac_f64_e32 v[68:69], v[68:69], v[70:71]
	v_fma_f64 v[76:77], -v[68:69], v[68:69], v[18:19]
	v_fmac_f64_e32 v[66:67], v[66:67], v[70:71]
	v_fmac_f64_e32 v[68:69], v[76:77], v[66:67]
	v_fma_f64 v[70:71], -v[68:69], v[68:69], v[18:19]
	v_fmac_f64_e32 v[68:69], v[70:71], v[66:67]
	v_ldexp_f64 v[66:67], v[68:69], v45
	v_cndmask_b32_e32 v19, v67, v19, vcc
	v_cndmask_b32_e32 v18, v66, v18, vcc
	v_mul_f64 v[66:67], v[20:21], v[18:19]
.LBB11_7:                               ;   in Loop: Header=BB11_4 Depth=1
	s_or_b64 exec, exec, s[26:27]
                                        ; implicit-def: $vgpr18_vgpr19
                                        ; implicit-def: $vgpr20_vgpr21
.LBB11_8:                               ;   in Loop: Header=BB11_4 Depth=1
	s_andn2_saveexec_b64 s[24:25], s[24:25]
	s_cbranch_execz .LBB11_10
; %bb.9:                                ;   in Loop: Header=BB11_4 Depth=1
	v_div_scale_f64 v[66:67], s[26:27], v[18:19], v[18:19], v[20:21]
	v_rcp_f64_e32 v[68:69], v[66:67]
	v_div_scale_f64 v[70:71], vcc, v[20:21], v[18:19], v[20:21]
	v_fma_f64 v[76:77], -v[66:67], v[68:69], 1.0
	v_fmac_f64_e32 v[68:69], v[68:69], v[76:77]
	v_fma_f64 v[76:77], -v[66:67], v[68:69], 1.0
	v_fmac_f64_e32 v[68:69], v[68:69], v[76:77]
	v_mul_f64 v[76:77], v[70:71], v[68:69]
	v_fma_f64 v[66:67], -v[66:67], v[76:77], v[70:71]
	v_div_fmas_f64 v[66:67], v[66:67], v[68:69], v[76:77]
	v_div_fixup_f64 v[20:21], v[66:67], v[18:19], v[20:21]
	v_fma_f64 v[20:21], v[20:21], v[20:21], 1.0
	v_cmp_gt_f64_e32 vcc, s[20:21], v[20:21]
	s_nop 1
	v_cndmask_b32_e32 v45, 0, v73, vcc
	v_ldexp_f64 v[20:21], v[20:21], v45
	v_rsq_f64_e32 v[66:67], v[20:21]
	v_cndmask_b32_e32 v45, 0, v74, vcc
	v_cmp_class_f64_e32 vcc, v[20:21], v72
	v_mul_f64 v[68:69], v[20:21], v[66:67]
	v_mul_f64 v[66:67], v[66:67], 0.5
	v_fma_f64 v[70:71], -v[66:67], v[68:69], 0.5
	v_fmac_f64_e32 v[68:69], v[68:69], v[70:71]
	v_fma_f64 v[76:77], -v[68:69], v[68:69], v[20:21]
	v_fmac_f64_e32 v[66:67], v[66:67], v[70:71]
	v_fmac_f64_e32 v[68:69], v[76:77], v[66:67]
	v_fma_f64 v[70:71], -v[68:69], v[68:69], v[20:21]
	v_fmac_f64_e32 v[68:69], v[70:71], v[66:67]
	v_ldexp_f64 v[66:67], v[68:69], v45
	v_cndmask_b32_e32 v21, v67, v21, vcc
	v_cndmask_b32_e32 v20, v66, v20, vcc
	v_mul_f64 v[66:67], v[18:19], v[20:21]
.LBB11_10:                              ;   in Loop: Header=BB11_4 Depth=1
	s_or_b64 exec, exec, s[24:25]
	v_cmp_gt_f64_e32 vcc, s[20:21], v[66:67]
	v_lshl_add_u64 v[82:83], v[58:59], 4, s[2:3]
	v_ashrrev_i32_e32 v47, 31, v46
	v_cndmask_b32_e32 v18, 0, v73, vcc
	v_ldexp_f64 v[18:19], v[66:67], v18
	v_rsq_f64_e32 v[20:21], v[18:19]
	v_ashrrev_i32_e32 v45, 31, v44
	v_mul_f64 v[66:67], v[18:19], v[20:21]
	v_mul_f64 v[20:21], v[20:21], 0.5
	v_fma_f64 v[68:69], -v[20:21], v[66:67], 0.5
	v_fmac_f64_e32 v[66:67], v[66:67], v[68:69]
	v_fmac_f64_e32 v[20:21], v[20:21], v[68:69]
	v_fma_f64 v[68:69], -v[66:67], v[66:67], v[18:19]
	v_fmac_f64_e32 v[66:67], v[68:69], v[20:21]
	v_fma_f64 v[68:69], -v[66:67], v[66:67], v[18:19]
	v_fmac_f64_e32 v[66:67], v[68:69], v[20:21]
	v_cndmask_b32_e32 v20, 0, v74, vcc
	v_ldexp_f64 v[20:21], v[66:67], v20
	v_cmp_class_f64_e32 vcc, v[18:19], v72
	s_nop 1
	v_cndmask_b32_e32 v19, v21, v19, vcc
	v_cndmask_b32_e32 v18, v20, v18, vcc
	v_fma_f64 v[20:21], v[18:19], v[18:19], 0
	v_div_scale_f64 v[66:67], s[24:25], v[20:21], v[20:21], 1.0
	v_rcp_f64_e32 v[68:69], v[66:67]
	s_nop 0
	v_fma_f64 v[70:71], -v[66:67], v[68:69], 1.0
	v_fmac_f64_e32 v[68:69], v[68:69], v[70:71]
	v_fma_f64 v[70:71], -v[66:67], v[68:69], 1.0
	v_fmac_f64_e32 v[68:69], v[68:69], v[70:71]
	v_div_scale_f64 v[70:71], vcc, 1.0, v[20:21], 1.0
	v_mul_f64 v[76:77], v[70:71], v[68:69]
	v_fma_f64 v[66:67], -v[66:67], v[76:77], v[70:71]
	s_nop 1
	v_div_fmas_f64 v[66:67], v[66:67], v[68:69], v[76:77]
	v_div_fixup_f64 v[68:69], v[66:67], v[20:21], 1.0
	v_mul_f64 v[20:21], v[4:5], s[22:23]
	v_fmac_f64_e32 v[20:21], v[2:3], v[18:19]
	v_mul_f64 v[66:67], v[20:21], v[68:69]
	v_mul_f64 v[20:21], v[2:3], s[22:23]
	v_fma_f64 v[20:21], -v[4:5], v[18:19], v[20:21]
	v_mul_f64 v[76:77], v[20:21], v[68:69]
	v_mul_f64 v[70:71], v[76:77], -v[4:5]
	v_fmac_f64_e32 v[70:71], v[2:3], v[66:67]
	v_mul_f64 v[20:21], v[2:3], v[76:77]
	v_mul_f64 v[2:3], v[40:41], s[22:23]
	v_fmac_f64_e32 v[20:21], v[4:5], v[66:67]
	v_fmac_f64_e32 v[2:3], v[38:39], v[18:19]
	v_mul_f64 v[4:5], v[38:39], s[22:23]
	v_fma_f64 v[4:5], -v[40:41], v[18:19], v[4:5]
	v_mul_f64 v[78:79], v[2:3], v[68:69]
	v_mul_f64 v[80:81], v[4:5], v[68:69]
	v_fmac_f64_e32 v[70:71], v[38:39], v[78:79]
	v_fmac_f64_e32 v[20:21], v[40:41], v[78:79]
	v_fma_f64 v[18:19], -v[40:41], v[80:81], v[70:71]
	v_fmac_f64_e32 v[20:21], v[38:39], v[80:81]
	global_store_dwordx4 v[64:65], v[18:21], off
	s_waitcnt vmcnt(7)
	v_mul_f64 v[38:39], v[36:37], v[80:81]
	v_mul_f64 v[64:65], v[34:35], -v[80:81]
	v_mul_f64 v[2:3], v[76:77], -v[36:37]
	v_mul_f64 v[4:5], v[34:35], v[76:77]
	v_fmac_f64_e32 v[38:39], v[34:35], v[78:79]
	v_fmac_f64_e32 v[64:65], v[36:37], v[78:79]
	;; [unrolled: 1-line block ×4, first 2 shown]
	s_waitcnt vmcnt(6)
	v_fma_f64 v[34:35], -v[6:7], v[66:67], v[38:39]
	v_fma_f64 v[36:37], -v[8:9], v[66:67], v[64:65]
	v_fma_f64 v[34:35], v[8:9], -v[76:77], v[34:35]
	v_fmac_f64_e32 v[36:37], v[6:7], v[76:77]
	v_fmac_f64_e32 v[2:3], v[6:7], v[78:79]
	global_store_dwordx4 v[62:63], v[34:37], off
	global_load_dwordx4 v[34:37], v[82:83], off
	v_fma_f64 v[2:3], -v[8:9], v[80:81], v[2:3]
	v_fmac_f64_e32 v[4:5], v[8:9], v[78:79]
	s_waitcnt vmcnt(7)
	v_mul_f64 v[40:41], v[76:77], -v[32:33]
	v_mul_f64 v[8:9], v[30:31], v[76:77]
	v_mul_f64 v[62:63], v[32:33], v[80:81]
	v_mul_f64 v[58:59], v[30:31], -v[80:81]
	v_lshl_add_u64 v[38:39], v[42:43], 4, s[2:3]
	v_fmac_f64_e32 v[40:41], v[30:31], v[66:67]
	v_fmac_f64_e32 v[8:9], v[32:33], v[66:67]
	;; [unrolled: 1-line block ×4, first 2 shown]
	global_load_dwordx4 v[30:33], v[38:39], off
	s_waitcnt vmcnt(7)
	v_fmac_f64_e32 v[40:41], v[10:11], v[78:79]
	v_fmac_f64_e32 v[4:5], v[6:7], v[80:81]
	v_fma_f64 v[6:7], -v[12:13], v[80:81], v[40:41]
	v_fma_f64 v[40:41], -v[10:11], v[66:67], v[62:63]
	v_fma_f64 v[62:63], v[12:13], -v[76:77], v[40:41]
	s_waitcnt vmcnt(6)
	v_mul_f64 v[40:41], v[76:77], -v[16:17]
	v_fmac_f64_e32 v[40:41], v[14:15], v[66:67]
	v_fmac_f64_e32 v[8:9], v[12:13], v[78:79]
	v_fma_f64 v[64:65], -v[12:13], v[66:67], v[58:59]
	s_waitcnt vmcnt(5)
	v_fmac_f64_e32 v[40:41], v[26:27], v[78:79]
	v_fmac_f64_e32 v[8:9], v[10:11], v[80:81]
	;; [unrolled: 1-line block ×3, first 2 shown]
	v_fma_f64 v[10:11], -v[28:29], v[80:81], v[40:41]
	v_mul_f64 v[40:41], v[16:17], v[80:81]
	v_mul_f64 v[58:59], v[14:15], -v[80:81]
	v_mul_f64 v[12:13], v[14:15], v[76:77]
	v_fmac_f64_e32 v[40:41], v[14:15], v[78:79]
	v_fmac_f64_e32 v[58:59], v[16:17], v[78:79]
	;; [unrolled: 1-line block ×3, first 2 shown]
	v_fma_f64 v[14:15], -v[26:27], v[66:67], v[40:41]
	v_fma_f64 v[16:17], -v[28:29], v[66:67], v[58:59]
	v_fmac_f64_e32 v[12:13], v[28:29], v[78:79]
	v_fma_f64 v[14:15], v[28:29], -v[76:77], v[14:15]
	v_fmac_f64_e32 v[16:17], v[26:27], v[76:77]
	v_fmac_f64_e32 v[12:13], v[26:27], v[80:81]
	global_store_dwordx4 v[52:53], v[2:5], off
	global_store_dwordx4 v[60:61], v[62:65], off
	;; [unrolled: 1-line block ×5, first 2 shown]
	v_add_u32_e32 v40, s13, v44
	s_waitcnt vmcnt(9)
	v_mul_f64 v[14:15], v[24:25], v[80:81]
	v_mul_f64 v[16:17], v[22:23], -v[80:81]
	v_fmac_f64_e32 v[14:15], v[22:23], v[78:79]
	v_fmac_f64_e32 v[16:17], v[24:25], v[78:79]
	global_store_dwordx4 v[54:55], v[14:17], off
	v_ashrrev_i32_e32 v41, 31, v40
	v_lshl_add_u64 v[54:55], v[40:41], 4, s[16:17]
	v_mul_f64 v[14:15], v[76:77], -v[24:25]
	v_fmac_f64_e32 v[14:15], v[22:23], v[66:67]
	v_mul_f64 v[16:17], v[22:23], v[76:77]
	v_fmac_f64_e32 v[16:17], v[24:25], v[66:67]
	global_store_dwordx4 v[54:55], v[14:17], off
	v_lshl_add_u64 v[56:57], v[44:45], 4, s[16:17]
	s_waitcnt vmcnt(8)
	v_mul_f64 v[22:23], v[76:77], -v[36:37]
	v_fmac_f64_e32 v[22:23], v[34:35], v[66:67]
	v_mul_f64 v[70:71], v[76:77], v[34:35]
	v_mul_f64 v[24:25], v[34:35], -v[80:81]
	v_fmac_f64_e32 v[70:71], v[36:37], v[66:67]
	v_fmac_f64_e32 v[24:25], v[36:37], v[78:79]
	s_waitcnt vmcnt(7)
	v_fmac_f64_e32 v[22:23], v[30:31], v[78:79]
	v_fma_f64 v[68:69], -v[32:33], v[80:81], v[22:23]
	v_mul_f64 v[22:23], v[80:81], v[36:37]
	v_fmac_f64_e32 v[22:23], v[34:35], v[78:79]
	v_fma_f64 v[22:23], -v[30:31], v[66:67], v[22:23]
	v_fma_f64 v[64:65], v[32:33], -v[76:77], v[22:23]
	v_lshlrev_b64 v[22:23], 4, v[46:47]
	v_lshl_add_u64 v[62:63], s[6:7], 0, v[22:23]
	global_load_dwordx4 v[34:37], v[62:63], off
	v_fmac_f64_e32 v[70:71], v[32:33], v[78:79]
	v_fma_f64 v[66:67], -v[32:33], v[66:67], v[24:25]
	v_lshl_add_u64 v[60:61], s[8:9], 0, v[22:23]
	v_lshl_add_u64 v[58:59], s[10:11], 0, v[22:23]
	v_fmac_f64_e32 v[70:71], v[30:31], v[80:81]
	v_fmac_f64_e32 v[66:67], v[30:31], v[76:77]
	global_load_dwordx4 v[30:33], v[60:61], off
	global_load_dwordx4 v[26:29], v[58:59], off
	;; [unrolled: 1-line block ×3, first 2 shown]
	s_nop 0
	global_store_dwordx4 v[38:39], v[68:71], off
	global_store_dwordx4 v[82:83], v[64:67], off
                                        ; implicit-def: $vgpr68_vgpr69
	s_nop 1
	v_mul_f64 v[66:67], v[18:19], -v[20:21]
	v_fmac_f64_e32 v[66:67], v[20:21], v[18:19]
	v_mul_f64 v[64:65], v[20:21], v[20:21]
	v_fmac_f64_e32 v[64:65], v[18:19], v[18:19]
	s_waitcnt vmcnt(5)
	v_fmac_f64_e32 v[66:67], v[36:37], v[34:35]
	v_fma_f64 v[70:71], v[34:35], -v[36:37], v[66:67]
	v_fmac_f64_e32 v[64:65], v[34:35], v[34:35]
	v_xor_b32_e32 v41, 0x80000000, v71
	v_cmp_gt_f64_e32 vcc, 0, v[70:71]
	v_fmac_f64_e32 v[64:65], v[36:37], v[36:37]
	v_mov_b32_e32 v66, v70
	v_cndmask_b32_e32 v67, v71, v41, vcc
	v_cmp_ngt_f64_e32 vcc, v[64:65], v[66:67]
	s_and_saveexec_b64 s[24:25], vcc
	s_xor_b64 s[24:25], exec, s[24:25]
	s_cbranch_execz .LBB11_14
; %bb.11:                               ;   in Loop: Header=BB11_4 Depth=1
	v_mov_b64_e32 v[68:69], 0
	v_cmp_neq_f64_e32 vcc, 0, v[70:71]
	s_and_saveexec_b64 s[26:27], vcc
	s_cbranch_execz .LBB11_13
; %bb.12:                               ;   in Loop: Header=BB11_4 Depth=1
	v_div_scale_f64 v[68:69], s[34:35], v[66:67], v[66:67], v[64:65]
	v_rcp_f64_e32 v[70:71], v[68:69]
	v_div_scale_f64 v[76:77], vcc, v[64:65], v[66:67], v[64:65]
	v_fma_f64 v[78:79], -v[68:69], v[70:71], 1.0
	v_fmac_f64_e32 v[70:71], v[70:71], v[78:79]
	v_fma_f64 v[78:79], -v[68:69], v[70:71], 1.0
	v_fmac_f64_e32 v[70:71], v[70:71], v[78:79]
	v_mul_f64 v[78:79], v[76:77], v[70:71]
	v_fma_f64 v[68:69], -v[68:69], v[78:79], v[76:77]
	v_div_fmas_f64 v[68:69], v[68:69], v[70:71], v[78:79]
	v_div_fixup_f64 v[64:65], v[68:69], v[66:67], v[64:65]
	v_fma_f64 v[64:65], v[64:65], v[64:65], 1.0
	v_cmp_gt_f64_e32 vcc, s[20:21], v[64:65]
	s_nop 1
	v_cndmask_b32_e32 v41, 0, v73, vcc
	v_ldexp_f64 v[64:65], v[64:65], v41
	v_rsq_f64_e32 v[68:69], v[64:65]
	v_cndmask_b32_e32 v41, 0, v74, vcc
	v_cmp_class_f64_e32 vcc, v[64:65], v72
	v_mul_f64 v[70:71], v[64:65], v[68:69]
	v_mul_f64 v[68:69], v[68:69], 0.5
	v_fma_f64 v[76:77], -v[68:69], v[70:71], 0.5
	v_fmac_f64_e32 v[70:71], v[70:71], v[76:77]
	v_fma_f64 v[78:79], -v[70:71], v[70:71], v[64:65]
	v_fmac_f64_e32 v[68:69], v[68:69], v[76:77]
	v_fmac_f64_e32 v[70:71], v[78:79], v[68:69]
	v_fma_f64 v[76:77], -v[70:71], v[70:71], v[64:65]
	v_fmac_f64_e32 v[70:71], v[76:77], v[68:69]
	v_ldexp_f64 v[68:69], v[70:71], v41
	v_cndmask_b32_e32 v65, v69, v65, vcc
	v_cndmask_b32_e32 v64, v68, v64, vcc
	v_mul_f64 v[68:69], v[66:67], v[64:65]
.LBB11_13:                              ;   in Loop: Header=BB11_4 Depth=1
	s_or_b64 exec, exec, s[26:27]
                                        ; implicit-def: $vgpr64_vgpr65
                                        ; implicit-def: $vgpr66_vgpr67
.LBB11_14:                              ;   in Loop: Header=BB11_4 Depth=1
	s_andn2_saveexec_b64 s[24:25], s[24:25]
	s_cbranch_execz .LBB11_3
; %bb.15:                               ;   in Loop: Header=BB11_4 Depth=1
	v_div_scale_f64 v[68:69], s[26:27], v[64:65], v[64:65], v[66:67]
	v_rcp_f64_e32 v[70:71], v[68:69]
	v_div_scale_f64 v[76:77], vcc, v[66:67], v[64:65], v[66:67]
	v_fma_f64 v[78:79], -v[68:69], v[70:71], 1.0
	v_fmac_f64_e32 v[70:71], v[70:71], v[78:79]
	v_fma_f64 v[78:79], -v[68:69], v[70:71], 1.0
	v_fmac_f64_e32 v[70:71], v[70:71], v[78:79]
	v_mul_f64 v[78:79], v[76:77], v[70:71]
	v_fma_f64 v[68:69], -v[68:69], v[78:79], v[76:77]
	v_div_fmas_f64 v[68:69], v[68:69], v[70:71], v[78:79]
	v_div_fixup_f64 v[66:67], v[68:69], v[64:65], v[66:67]
	v_fma_f64 v[66:67], v[66:67], v[66:67], 1.0
	v_cmp_gt_f64_e32 vcc, s[20:21], v[66:67]
	s_nop 1
	v_cndmask_b32_e32 v41, 0, v73, vcc
	v_ldexp_f64 v[66:67], v[66:67], v41
	v_rsq_f64_e32 v[68:69], v[66:67]
	v_cndmask_b32_e32 v41, 0, v74, vcc
	v_cmp_class_f64_e32 vcc, v[66:67], v72
	v_mul_f64 v[70:71], v[66:67], v[68:69]
	v_mul_f64 v[68:69], v[68:69], 0.5
	v_fma_f64 v[76:77], -v[68:69], v[70:71], 0.5
	v_fmac_f64_e32 v[70:71], v[70:71], v[76:77]
	v_fma_f64 v[78:79], -v[70:71], v[70:71], v[66:67]
	v_fmac_f64_e32 v[68:69], v[68:69], v[76:77]
	v_fmac_f64_e32 v[70:71], v[78:79], v[68:69]
	v_fma_f64 v[76:77], -v[70:71], v[70:71], v[66:67]
	v_fmac_f64_e32 v[70:71], v[76:77], v[68:69]
	v_ldexp_f64 v[68:69], v[70:71], v41
	v_cndmask_b32_e32 v67, v69, v67, vcc
	v_cndmask_b32_e32 v66, v68, v66, vcc
	v_mul_f64 v[68:69], v[64:65], v[66:67]
	s_branch .LBB11_3
.LBB11_16:
	s_add_i32 s0, s12, -1
	s_mul_i32 s20, s14, s0
	v_add_u32_e32 v62, s20, v1
	v_ashrrev_i32_e32 v63, 31, v62
	v_lshlrev_b64 v[2:3], 4, v[62:63]
	s_sub_i32 s21, s20, s14
	s_waitcnt lgkmcnt(0)
	v_lshl_add_u64 v[4:5], s[4:5], 0, v[2:3]
	v_add_u32_e32 v66, s21, v1
	global_load_dwordx4 v[30:33], v[4:5], off
	v_ashrrev_i32_e32 v67, 31, v66
	v_lshlrev_b64 v[4:5], 4, v[66:67]
	s_mul_i32 s0, s13, s28
	v_lshl_add_u64 v[54:55], s[6:7], 0, v[4:5]
	v_add_u32_e32 v38, s0, v1
	v_lshl_add_u64 v[68:69], s[6:7], 0, v[2:3]
	global_load_dwordx4 v[34:37], v[54:55], off
	global_load_dwordx4 v[26:29], v[68:69], off
	v_ashrrev_i32_e32 v39, 31, v38
	v_add_u32_e32 v44, s13, v38
	v_lshl_add_u64 v[58:59], s[8:9], 0, v[4:5]
	v_lshl_add_u64 v[40:41], v[38:39], 4, s[16:17]
	v_ashrrev_i32_e32 v45, 31, v44
	v_lshl_add_u64 v[64:65], s[8:9], 0, v[2:3]
	global_load_dwordx4 v[22:25], v[58:59], off
	global_load_dwordx4 v[14:17], v[64:65], off
	v_lshl_add_u64 v[46:47], s[10:11], 0, v[4:5]
	v_lshl_add_u64 v[48:49], s[10:11], 0, v[2:3]
	v_lshl_add_u64 v[42:43], v[44:45], 4, s[16:17]
	global_load_dwordx4 v[6:9], v[40:41], off
	global_load_dwordx4 v[2:5], v[42:43], off
	;; [unrolled: 1-line block ×4, first 2 shown]
                                        ; implicit-def: $vgpr56_vgpr57
	s_waitcnt vmcnt(8)
	v_mul_f64 v[52:53], v[30:31], -v[32:33]
	v_fmac_f64_e32 v[52:53], v[32:33], v[30:31]
	v_mul_f64 v[50:51], v[32:33], v[32:33]
	v_fmac_f64_e32 v[50:51], v[30:31], v[30:31]
	s_waitcnt vmcnt(7)
	v_fmac_f64_e32 v[52:53], v[36:37], v[34:35]
	v_fma_f64 v[60:61], v[34:35], -v[36:37], v[52:53]
	v_fmac_f64_e32 v[50:51], v[34:35], v[34:35]
	v_xor_b32_e32 v45, 0x80000000, v61
	v_cmp_gt_f64_e32 vcc, 0, v[60:61]
	v_fmac_f64_e32 v[50:51], v[36:37], v[36:37]
	v_mov_b32_e32 v52, v60
	v_cndmask_b32_e32 v53, v61, v45, vcc
	v_cmp_ngt_f64_e32 vcc, v[50:51], v[52:53]
	s_and_saveexec_b64 s[0:1], vcc
	s_xor_b64 s[0:1], exec, s[0:1]
	s_cbranch_execz .LBB11_20
; %bb.17:
	v_mov_b64_e32 v[56:57], 0
	v_cmp_neq_f64_e32 vcc, 0, v[60:61]
	s_and_saveexec_b64 s[4:5], vcc
	s_cbranch_execz .LBB11_19
; %bb.18:
	v_div_scale_f64 v[56:57], s[22:23], v[52:53], v[52:53], v[50:51]
	v_rcp_f64_e32 v[60:61], v[56:57]
	v_div_scale_f64 v[70:71], vcc, v[50:51], v[52:53], v[50:51]
	s_mov_b32 s22, 0
	v_fma_f64 v[72:73], -v[56:57], v[60:61], 1.0
	v_fmac_f64_e32 v[60:61], v[60:61], v[72:73]
	v_fma_f64 v[72:73], -v[56:57], v[60:61], 1.0
	v_fmac_f64_e32 v[60:61], v[60:61], v[72:73]
	v_mul_f64 v[72:73], v[70:71], v[60:61]
	v_fma_f64 v[56:57], -v[56:57], v[72:73], v[70:71]
	v_div_fmas_f64 v[56:57], v[56:57], v[60:61], v[72:73]
	v_div_fixup_f64 v[50:51], v[56:57], v[52:53], v[50:51]
	v_fma_f64 v[50:51], v[50:51], v[50:51], 1.0
	s_brev_b32 s23, 8
	v_mov_b32_e32 v45, 0x100
	v_cmp_gt_f64_e32 vcc, s[22:23], v[50:51]
	s_nop 1
	v_cndmask_b32_e32 v45, 0, v45, vcc
	v_ldexp_f64 v[50:51], v[50:51], v45
	v_rsq_f64_e32 v[56:57], v[50:51]
	v_mov_b32_e32 v45, 0xffffff80
	v_cndmask_b32_e32 v45, 0, v45, vcc
	v_mul_f64 v[60:61], v[50:51], v[56:57]
	v_mul_f64 v[56:57], v[56:57], 0.5
	v_fma_f64 v[70:71], -v[56:57], v[60:61], 0.5
	v_fmac_f64_e32 v[60:61], v[60:61], v[70:71]
	v_fma_f64 v[72:73], -v[60:61], v[60:61], v[50:51]
	v_fmac_f64_e32 v[56:57], v[56:57], v[70:71]
	v_fmac_f64_e32 v[60:61], v[72:73], v[56:57]
	v_fma_f64 v[70:71], -v[60:61], v[60:61], v[50:51]
	v_fmac_f64_e32 v[60:61], v[70:71], v[56:57]
	v_ldexp_f64 v[56:57], v[60:61], v45
	v_mov_b32_e32 v45, 0x260
	v_cmp_class_f64_e32 vcc, v[50:51], v45
	s_nop 1
	v_cndmask_b32_e32 v51, v57, v51, vcc
	v_cndmask_b32_e32 v50, v56, v50, vcc
	v_mul_f64 v[56:57], v[52:53], v[50:51]
.LBB11_19:
	s_or_b64 exec, exec, s[4:5]
                                        ; implicit-def: $vgpr50_vgpr51
                                        ; implicit-def: $vgpr52_vgpr53
.LBB11_20:
	s_andn2_saveexec_b64 s[0:1], s[0:1]
	s_cbranch_execz .LBB11_22
; %bb.21:
	v_div_scale_f64 v[56:57], s[4:5], v[50:51], v[50:51], v[52:53]
	v_rcp_f64_e32 v[60:61], v[56:57]
	v_div_scale_f64 v[70:71], vcc, v[52:53], v[50:51], v[52:53]
	s_mov_b32 s4, 0
	v_fma_f64 v[72:73], -v[56:57], v[60:61], 1.0
	v_fmac_f64_e32 v[60:61], v[60:61], v[72:73]
	v_fma_f64 v[72:73], -v[56:57], v[60:61], 1.0
	v_fmac_f64_e32 v[60:61], v[60:61], v[72:73]
	v_mul_f64 v[72:73], v[70:71], v[60:61]
	v_fma_f64 v[56:57], -v[56:57], v[72:73], v[70:71]
	v_div_fmas_f64 v[56:57], v[56:57], v[60:61], v[72:73]
	v_div_fixup_f64 v[52:53], v[56:57], v[50:51], v[52:53]
	v_fma_f64 v[52:53], v[52:53], v[52:53], 1.0
	s_brev_b32 s5, 8
	v_mov_b32_e32 v45, 0x100
	v_cmp_gt_f64_e32 vcc, s[4:5], v[52:53]
	s_nop 1
	v_cndmask_b32_e32 v45, 0, v45, vcc
	v_ldexp_f64 v[52:53], v[52:53], v45
	v_rsq_f64_e32 v[56:57], v[52:53]
	v_mov_b32_e32 v45, 0xffffff80
	v_cndmask_b32_e32 v45, 0, v45, vcc
	v_mul_f64 v[60:61], v[52:53], v[56:57]
	v_mul_f64 v[56:57], v[56:57], 0.5
	v_fma_f64 v[70:71], -v[56:57], v[60:61], 0.5
	v_fmac_f64_e32 v[60:61], v[60:61], v[70:71]
	v_fma_f64 v[72:73], -v[60:61], v[60:61], v[52:53]
	v_fmac_f64_e32 v[56:57], v[56:57], v[70:71]
	v_fmac_f64_e32 v[60:61], v[72:73], v[56:57]
	v_fma_f64 v[70:71], -v[60:61], v[60:61], v[52:53]
	v_fmac_f64_e32 v[60:61], v[70:71], v[56:57]
	v_ldexp_f64 v[56:57], v[60:61], v45
	v_mov_b32_e32 v45, 0x260
	v_cmp_class_f64_e32 vcc, v[52:53], v45
	s_nop 1
	v_cndmask_b32_e32 v53, v57, v53, vcc
	v_cndmask_b32_e32 v52, v56, v52, vcc
	v_mul_f64 v[56:57], v[50:51], v[52:53]
.LBB11_22:
	s_or_b64 exec, exec, s[0:1]
	s_mov_b32 s0, 0
	s_brev_b32 s1, 8
	v_mov_b32_e32 v45, 0x100
	v_cmp_gt_f64_e32 vcc, s[0:1], v[56:57]
	s_sub_i32 s4, s21, s14
	s_nop 0
	v_cndmask_b32_e32 v45, 0, v45, vcc
	v_ldexp_f64 v[50:51], v[56:57], v45
	v_rsq_f64_e32 v[52:53], v[50:51]
	v_mov_b32_e32 v45, 0xffffff80
	v_cndmask_b32_e32 v45, 0, v45, vcc
	v_mul_f64 v[56:57], v[50:51], v[52:53]
	v_mul_f64 v[52:53], v[52:53], 0.5
	v_fma_f64 v[60:61], -v[52:53], v[56:57], 0.5
	v_fmac_f64_e32 v[56:57], v[56:57], v[60:61]
	v_fma_f64 v[70:71], -v[56:57], v[56:57], v[50:51]
	v_fmac_f64_e32 v[52:53], v[52:53], v[60:61]
	v_fmac_f64_e32 v[56:57], v[70:71], v[52:53]
	v_fma_f64 v[60:61], -v[56:57], v[56:57], v[50:51]
	v_fmac_f64_e32 v[56:57], v[60:61], v[52:53]
	v_ldexp_f64 v[52:53], v[56:57], v45
	v_mov_b32_e32 v45, 0x260
	v_cmp_class_f64_e32 vcc, v[50:51], v45
	s_nop 1
	v_cndmask_b32_e32 v53, v53, v51, vcc
	v_cndmask_b32_e32 v52, v52, v50, vcc
	v_fma_f64 v[50:51], v[52:53], v[52:53], 0
	v_div_scale_f64 v[56:57], s[0:1], v[50:51], v[50:51], 1.0
	v_rcp_f64_e32 v[60:61], v[56:57]
	s_mov_b32 s0, 0
	s_brev_b32 s1, 1
	v_fma_f64 v[70:71], -v[56:57], v[60:61], 1.0
	v_fmac_f64_e32 v[60:61], v[60:61], v[70:71]
	v_fma_f64 v[70:71], -v[56:57], v[60:61], 1.0
	v_fmac_f64_e32 v[60:61], v[60:61], v[70:71]
	v_div_scale_f64 v[70:71], vcc, 1.0, v[50:51], 1.0
	v_mul_f64 v[72:73], v[70:71], v[60:61]
	v_fma_f64 v[56:57], -v[56:57], v[72:73], v[70:71]
	s_nop 1
	v_div_fmas_f64 v[56:57], v[56:57], v[60:61], v[72:73]
	v_div_fixup_f64 v[70:71], v[56:57], v[50:51], 1.0
	v_mul_f64 v[50:51], v[36:37], s[0:1]
	v_fmac_f64_e32 v[50:51], v[34:35], v[52:53]
	v_mul_f64 v[56:57], v[50:51], v[70:71]
	v_mul_f64 v[50:51], v[34:35], s[0:1]
	v_fma_f64 v[50:51], -v[36:37], v[52:53], v[50:51]
	v_mul_f64 v[60:61], v[50:51], v[70:71]
	v_mul_f64 v[50:51], v[32:33], s[0:1]
	;; [unrolled: 1-line block ×3, first 2 shown]
	v_fmac_f64_e32 v[50:51], v[30:31], v[52:53]
	v_fma_f64 v[52:53], -v[32:33], v[52:53], v[72:73]
	v_mul_f64 v[52:53], v[52:53], v[70:71]
	v_mul_f64 v[50:51], v[50:51], v[70:71]
	v_mul_f64 v[70:71], v[52:53], -v[32:33]
	v_fmac_f64_e32 v[70:71], v[30:31], v[50:51]
	v_mul_f64 v[72:73], v[30:31], v[52:53]
	s_waitcnt vmcnt(6)
	v_mul_f64 v[30:31], v[28:29], v[60:61]
	v_fmac_f64_e32 v[72:73], v[32:33], v[50:51]
	v_fmac_f64_e32 v[30:31], v[26:27], v[56:57]
	v_fmac_f64_e32 v[70:71], v[34:35], v[56:57]
	v_fmac_f64_e32 v[72:73], v[36:37], v[56:57]
	s_waitcnt vmcnt(5)
	v_fma_f64 v[30:31], -v[22:23], v[50:51], v[30:31]
	v_fma_f64 v[70:71], -v[36:37], v[60:61], v[70:71]
	v_fmac_f64_e32 v[72:73], v[34:35], v[60:61]
	v_fma_f64 v[32:33], v[24:25], -v[52:53], v[30:31]
	v_lshl_add_u64 v[30:31], v[62:63], 4, s[2:3]
	global_store_dwordx4 v[54:55], v[70:73], off
	v_mul_f64 v[36:37], v[52:53], -v[28:29]
	global_load_dwordx4 v[70:73], v[30:31], off
	v_mul_f64 v[34:35], v[26:27], -v[60:61]
	v_fmac_f64_e32 v[36:37], v[26:27], v[50:51]
	v_mul_f64 v[76:77], v[26:27], v[52:53]
	v_lshl_add_u64 v[26:27], v[66:67], 4, s[2:3]
	global_load_dwordx4 v[78:81], v[26:27], off
	v_fmac_f64_e32 v[34:35], v[28:29], v[56:57]
	v_fmac_f64_e32 v[76:77], v[28:29], v[50:51]
	v_fma_f64 v[34:35], -v[24:25], v[50:51], v[34:35]
	v_fmac_f64_e32 v[36:37], v[22:23], v[56:57]
	v_fmac_f64_e32 v[76:77], v[24:25], v[56:57]
	;; [unrolled: 1-line block ×3, first 2 shown]
	v_fma_f64 v[74:75], -v[24:25], v[60:61], v[36:37]
	v_fmac_f64_e32 v[76:77], v[22:23], v[60:61]
	s_waitcnt vmcnt(7)
	v_mul_f64 v[22:23], v[16:17], v[60:61]
	v_mul_f64 v[24:25], v[14:15], -v[60:61]
	v_fmac_f64_e32 v[22:23], v[14:15], v[56:57]
	v_fmac_f64_e32 v[24:25], v[16:17], v[56:57]
	s_waitcnt vmcnt(4)
	v_fma_f64 v[22:23], -v[18:19], v[50:51], v[22:23]
	v_fma_f64 v[24:25], -v[20:21], v[50:51], v[24:25]
	v_fma_f64 v[22:23], v[20:21], -v[52:53], v[22:23]
	v_fmac_f64_e32 v[24:25], v[18:19], v[52:53]
	global_store_dwordx4 v[58:59], v[74:77], off
	global_store_dwordx4 v[64:65], v[22:25], off
	v_mul_f64 v[28:29], v[34:35], v[34:35]
	v_fmac_f64_e32 v[28:29], v[32:33], v[32:33]
	v_div_scale_f64 v[36:37], s[0:1], v[28:29], v[28:29], 1.0
	v_rcp_f64_e32 v[66:67], v[36:37]
	global_store_dwordx4 v[68:69], v[32:35], off
	s_waitcnt vmcnt(6)
	v_mul_f64 v[74:75], v[52:53], -v[12:13]
	v_fmac_f64_e32 v[74:75], v[10:11], v[50:51]
	v_fmac_f64_e32 v[74:75], v[6:7], v[56:57]
	s_waitcnt vmcnt(4)
	v_mul_f64 v[22:23], v[52:53], -v[72:73]
	v_mul_f64 v[24:25], v[52:53], v[70:71]
	v_fmac_f64_e32 v[22:23], v[70:71], v[50:51]
	v_fmac_f64_e32 v[24:25], v[72:73], v[50:51]
	s_waitcnt vmcnt(3)
	v_fmac_f64_e32 v[22:23], v[78:79], v[56:57]
	v_fmac_f64_e32 v[24:25], v[80:81], v[56:57]
	v_fma_f64 v[22:23], -v[80:81], v[60:61], v[22:23]
	v_fmac_f64_e32 v[24:25], v[78:79], v[60:61]
	global_store_dwordx4 v[26:27], v[22:25], off
	s_nop 1
	v_mul_f64 v[22:23], v[60:61], v[72:73]
	v_fmac_f64_e32 v[22:23], v[70:71], v[56:57]
	v_fma_f64 v[22:23], -v[78:79], v[50:51], v[22:23]
	v_fma_f64 v[68:69], v[80:81], -v[52:53], v[22:23]
	v_fma_f64 v[22:23], -v[36:37], v[66:67], 1.0
	v_fmac_f64_e32 v[66:67], v[66:67], v[22:23]
	v_fma_f64 v[22:23], -v[36:37], v[66:67], 1.0
	v_mul_f64 v[24:25], v[70:71], -v[60:61]
	v_fmac_f64_e32 v[66:67], v[66:67], v[22:23]
	v_div_scale_f64 v[22:23], vcc, 1.0, v[28:29], 1.0
	v_fmac_f64_e32 v[24:25], v[72:73], v[56:57]
	v_mul_f64 v[72:73], v[22:23], v[66:67]
	v_fma_f64 v[70:71], -v[80:81], v[50:51], v[24:25]
	v_fma_f64 v[36:37], -v[36:37], v[72:73], v[22:23]
	global_load_dwordx4 v[22:25], v[58:59], off
	global_load_dwordx4 v[62:65], v[54:55], off
	v_fmac_f64_e32 v[70:71], v[78:79], v[52:53]
	v_div_fmas_f64 v[36:37], v[36:37], v[66:67], v[72:73]
	v_div_fixup_f64 v[28:29], v[36:37], v[28:29], 1.0
	v_mul_f64 v[36:37], v[34:35], v[70:71]
	v_mul_f64 v[34:35], v[34:35], -v[68:69]
	v_fmac_f64_e32 v[36:37], v[68:69], v[32:33]
	v_fmac_f64_e32 v[34:35], v[70:71], v[32:33]
	v_mul_f64 v[66:67], v[28:29], v[36:37]
	v_mul_f64 v[68:69], v[28:29], v[34:35]
	global_store_dwordx4 v[30:31], v[66:69], off
	global_load_dwordx4 v[32:35], v[26:27], off
	v_mul_f64 v[72:73], v[14:15], v[52:53]
	v_mul_f64 v[36:37], v[52:53], -v[16:17]
	v_fmac_f64_e32 v[72:73], v[16:17], v[50:51]
	v_fmac_f64_e32 v[36:37], v[14:15], v[50:51]
	;; [unrolled: 1-line block ×5, first 2 shown]
	v_mul_f64 v[54:55], v[12:13], v[60:61]
	v_fma_f64 v[70:71], -v[20:21], v[60:61], v[36:37]
	v_mul_f64 v[58:59], v[10:11], -v[60:61]
	v_fmac_f64_e32 v[54:55], v[10:11], v[56:57]
	v_fmac_f64_e32 v[58:59], v[12:13], v[56:57]
	v_fma_f64 v[14:15], -v[6:7], v[50:51], v[54:55]
	v_add_u32_e32 v28, s4, v1
	v_fma_f64 v[16:17], -v[8:9], v[50:51], v[58:59]
	v_fma_f64 v[14:15], v[8:9], -v[52:53], v[14:15]
	v_ashrrev_i32_e32 v29, 31, v28
	v_fmac_f64_e32 v[16:17], v[6:7], v[52:53]
	global_store_dwordx4 v[46:47], v[70:73], off
	global_store_dwordx4 v[48:49], v[14:17], off
	v_lshlrev_b64 v[28:29], 4, v[28:29]
	v_mul_f64 v[58:59], v[10:11], v[52:53]
	v_fmac_f64_e32 v[58:59], v[12:13], v[50:51]
	v_fmac_f64_e32 v[58:59], v[8:9], v[56:57]
	;; [unrolled: 1-line block ×3, first 2 shown]
	s_waitcnt vmcnt(5)
	v_mul_f64 v[14:15], v[68:69], -v[24:25]
	s_waitcnt vmcnt(4)
	v_mul_f64 v[18:19], v[64:65], v[64:65]
	v_fmac_f64_e32 v[18:19], v[62:63], v[62:63]
	v_div_scale_f64 v[20:21], s[0:1], v[18:19], v[18:19], 1.0
	v_rcp_f64_e32 v[36:37], v[20:21]
	v_mul_f64 v[16:17], v[68:69], v[22:23]
	v_fmac_f64_e32 v[14:15], v[22:23], v[66:67]
	v_fmac_f64_e32 v[16:17], v[24:25], v[66:67]
	v_fma_f64 v[22:23], -v[20:21], v[36:37], 1.0
	v_fmac_f64_e32 v[36:37], v[36:37], v[22:23]
	v_mul_f64 v[66:67], v[4:5], v[60:61]
	s_waitcnt vmcnt(2)
	v_add_f64 v[22:23], v[32:33], -v[14:15]
	v_lshl_add_u64 v[14:15], s[6:7], 0, v[28:29]
	v_add_f64 v[24:25], v[34:35], -v[16:17]
	global_load_dwordx4 v[14:17], v[14:15], off
	v_fma_f64 v[32:33], -v[20:21], v[36:37], 1.0
	v_fmac_f64_e32 v[36:37], v[36:37], v[32:33]
	v_div_scale_f64 v[32:33], vcc, 1.0, v[18:19], 1.0
	v_mul_f64 v[34:35], v[32:33], v[36:37]
	v_fma_f64 v[20:21], -v[20:21], v[34:35], v[32:33]
	v_mul_f64 v[68:69], v[2:3], -v[60:61]
	s_nop 0
	v_div_fmas_f64 v[20:21], v[20:21], v[36:37], v[34:35]
	v_div_fixup_f64 v[20:21], v[20:21], v[18:19], 1.0
	v_mul_f64 v[18:19], v[24:25], v[64:65]
	v_fmac_f64_e32 v[18:19], v[22:23], v[62:63]
	v_mul_f64 v[22:23], v[64:65], -v[22:23]
	v_fmac_f64_e32 v[22:23], v[24:25], v[62:63]
	v_mul_f64 v[18:19], v[18:19], v[20:21]
	v_mul_f64 v[20:21], v[22:23], v[20:21]
	v_lshl_add_u64 v[22:23], s[8:9], 0, v[28:29]
	global_load_dwordx4 v[22:25], v[22:23], off
	v_lshl_add_u64 v[36:37], s[2:3], 0, v[28:29]
	global_store_dwordx4 v[26:27], v[18:21], off
	v_lshl_add_u64 v[28:29], s[10:11], 0, v[28:29]
	global_load_dwordx4 v[32:35], v[36:37], off
	global_load_dwordx4 v[46:49], v[28:29], off
	global_load_dwordx4 v[62:65], v[30:31], off
	v_fmac_f64_e32 v[66:67], v[2:3], v[56:57]
	v_fmac_f64_e32 v[68:69], v[4:5], v[56:57]
	v_fma_f64 v[56:57], -v[8:9], v[60:61], v[74:75]
	v_mad_u64_u32 v[28:29], s[0:1], s13, -3, v[44:45]
	global_store_dwordx4 v[40:41], v[56:59], off
	global_store_dwordx4 v[42:43], v[66:69], off
	s_sub_i32 s0, s4, s14
	v_add_u32_e32 v44, s0, v1
	v_ashrrev_i32_e32 v45, 31, v44
	v_lshlrev_b64 v[44:45], 4, v[44:45]
	v_lshl_add_u64 v[54:55], s[2:3], 0, v[44:45]
	v_lshl_add_u64 v[70:71], s[8:9], 0, v[44:45]
	;; [unrolled: 1-line block ×4, first 2 shown]
	global_load_dwordx4 v[10:13], v[44:45], off
	global_load_dwordx4 v[6:9], v[70:71], off
	v_ashrrev_i32_e32 v29, 31, v28
	v_lshl_add_u64 v[28:29], v[28:29], 4, s[16:17]
	s_cmp_lt_i32 s12, 5
	s_waitcnt vmcnt(9)
	v_mul_f64 v[40:41], v[16:17], v[16:17]
	v_fmac_f64_e32 v[40:41], v[14:15], v[14:15]
	v_div_scale_f64 v[42:43], s[0:1], v[40:41], v[40:41], 1.0
	v_rcp_f64_e32 v[56:57], v[42:43]
	v_div_scale_f64 v[44:45], vcc, 1.0, v[40:41], 1.0
	v_fma_f64 v[58:59], -v[42:43], v[56:57], 1.0
	v_fmac_f64_e32 v[56:57], v[56:57], v[58:59]
	v_fma_f64 v[58:59], -v[42:43], v[56:57], 1.0
	v_fmac_f64_e32 v[56:57], v[56:57], v[58:59]
	v_mul_f64 v[58:59], v[44:45], v[56:57]
	v_fma_f64 v[42:43], -v[42:43], v[58:59], v[44:45]
	v_div_fmas_f64 v[42:43], v[42:43], v[56:57], v[58:59]
	v_div_fixup_f64 v[40:41], v[42:43], v[40:41], 1.0
	s_waitcnt vmcnt(8)
	v_mul_f64 v[42:43], v[20:21], -v[24:25]
	v_mul_f64 v[20:21], v[22:23], v[20:21]
	v_fmac_f64_e32 v[42:43], v[22:23], v[18:19]
	v_fmac_f64_e32 v[20:21], v[24:25], v[18:19]
	s_waitcnt vmcnt(6)
	v_add_f64 v[18:19], v[32:33], -v[42:43]
	s_waitcnt vmcnt(4)
	v_mul_f64 v[22:23], v[64:65], -v[48:49]
	v_mul_f64 v[24:25], v[64:65], v[46:47]
	v_add_f64 v[20:21], v[34:35], -v[20:21]
	v_fmac_f64_e32 v[22:23], v[46:47], v[62:63]
	v_fmac_f64_e32 v[24:25], v[48:49], v[62:63]
	v_add_f64 v[18:19], v[18:19], -v[22:23]
	v_add_f64 v[20:21], v[20:21], -v[24:25]
	v_mul_f64 v[22:23], v[16:17], v[20:21]
	v_mul_f64 v[16:17], v[16:17], -v[18:19]
	v_fmac_f64_e32 v[22:23], v[18:19], v[14:15]
	v_fmac_f64_e32 v[16:17], v[20:21], v[14:15]
	v_mul_f64 v[14:15], v[22:23], v[40:41]
	v_mul_f64 v[16:17], v[40:41], v[16:17]
	global_store_dwordx4 v[36:37], v[14:17], off
	global_load_dwordx4 v[18:21], v[54:55], off
	global_load_dwordx4 v[22:25], v[72:73], off
	;; [unrolled: 1-line block ×5, first 2 shown]
	v_mul_f64 v[26:27], v[52:53], -v[4:5]
	v_mul_f64 v[28:29], v[2:3], v[52:53]
	v_fmac_f64_e32 v[26:27], v[2:3], v[50:51]
	s_waitcnt vmcnt(7)
	v_mul_f64 v[2:3], v[12:13], v[12:13]
	v_fmac_f64_e32 v[2:3], v[10:11], v[10:11]
	v_fmac_f64_e32 v[28:29], v[4:5], v[50:51]
	v_div_scale_f64 v[4:5], s[0:1], v[2:3], v[2:3], 1.0
	v_rcp_f64_e32 v[36:37], v[4:5]
	v_lshl_add_u64 v[30:31], v[38:39], 4, s[18:19]
	global_store_dwordx4 v[30:31], v[26:29], off
	s_nop 1
	v_fma_f64 v[28:29], -v[4:5], v[36:37], 1.0
	v_fmac_f64_e32 v[36:37], v[36:37], v[28:29]
	v_fma_f64 v[28:29], -v[4:5], v[36:37], 1.0
	v_div_scale_f64 v[26:27], vcc, 1.0, v[2:3], 1.0
	v_fmac_f64_e32 v[36:37], v[36:37], v[28:29]
	v_mul_f64 v[28:29], v[26:27], v[36:37]
	v_fma_f64 v[4:5], -v[4:5], v[28:29], v[26:27]
	s_nop 0
	v_div_fmas_f64 v[4:5], v[4:5], v[36:37], v[28:29]
	v_div_fixup_f64 v[4:5], v[4:5], v[2:3], 1.0
	s_waitcnt vmcnt(7)
	v_mul_f64 v[2:3], v[16:17], -v[8:9]
	v_mul_f64 v[16:17], v[6:7], v[16:17]
	v_fmac_f64_e32 v[2:3], v[6:7], v[14:15]
	v_fmac_f64_e32 v[16:17], v[8:9], v[14:15]
	s_waitcnt vmcnt(5)
	v_add_f64 v[2:3], v[18:19], -v[2:3]
	v_add_f64 v[6:7], v[20:21], -v[16:17]
	s_waitcnt vmcnt(3)
	v_mul_f64 v[8:9], v[34:35], -v[24:25]
	v_mul_f64 v[14:15], v[34:35], v[22:23]
	s_waitcnt vmcnt(1)
	v_mul_f64 v[16:17], v[46:47], -v[42:43]
	v_mul_f64 v[18:19], v[46:47], v[40:41]
	v_fmac_f64_e32 v[8:9], v[22:23], v[32:33]
	v_fmac_f64_e32 v[14:15], v[24:25], v[32:33]
	;; [unrolled: 1-line block ×4, first 2 shown]
	v_add_f64 v[2:3], v[2:3], -v[8:9]
	v_add_f64 v[6:7], v[6:7], -v[14:15]
	v_add_f64 v[2:3], v[2:3], -v[16:17]
	v_add_f64 v[6:7], v[6:7], -v[18:19]
	v_mul_f64 v[8:9], v[12:13], v[6:7]
	v_mul_f64 v[12:13], v[12:13], -v[2:3]
	v_fmac_f64_e32 v[8:9], v[2:3], v[10:11]
	v_fmac_f64_e32 v[12:13], v[6:7], v[10:11]
	v_mul_f64 v[2:3], v[8:9], v[4:5]
	v_mul_f64 v[4:5], v[4:5], v[12:13]
	global_store_dwordx4 v[54:55], v[2:5], off
	s_cbranch_scc1 .LBB11_25
; %bb.23:
	s_add_i32 s1, s12, -5
	s_add_i32 s0, s12, -4
	s_mul_i32 s4, s13, s1
	v_add_u32_e32 v1, s4, v0
	s_mul_i32 s4, s14, s0
	v_add_u32_e32 v2, s4, v0
	s_add_i32 s4, s12, -3
	s_mul_i32 s4, s14, s4
	v_add_u32_e32 v3, s4, v0
	s_mul_i32 s4, s14, s28
	s_mul_i32 s1, s14, s1
	v_add_u32_e32 v4, s4, v0
	v_add_u32_e32 v5, s20, v0
	;; [unrolled: 1-line block ×3, first 2 shown]
.LBB11_24:                              ; =>This Inner Loop Header: Depth=1
	s_nop 0
	v_add_u32_e32 v6, s15, v0
	v_add_u32_e32 v8, s15, v2
	;; [unrolled: 1-line block ×6, first 2 shown]
	v_ashrrev_i32_e32 v7, 31, v6
	v_ashrrev_i32_e32 v9, 31, v8
	;; [unrolled: 1-line block ×6, first 2 shown]
	v_lshlrev_b64 v[22:23], 4, v[6:7]
	v_lshl_add_u64 v[6:7], v[8:9], 4, s[2:3]
	v_lshl_add_u64 v[10:11], v[10:11], 4, s[2:3]
	v_lshlrev_b64 v[18:19], 4, v[12:13]
	v_lshl_add_u64 v[14:15], v[14:15], 4, s[2:3]
	v_lshl_add_u64 v[20:21], v[16:17], 4, s[2:3]
	;; [unrolled: 1-line block ×3, first 2 shown]
	global_load_dwordx4 v[6:9], v[6:7], off
	v_lshl_add_u64 v[46:47], s[2:3], 0, v[22:23]
	v_lshl_add_u64 v[50:51], s[10:11], 0, v[22:23]
	global_load_dwordx4 v[10:13], v[10:11], off
	v_lshl_add_u64 v[52:53], s[16:17], 0, v[18:19]
	global_load_dwordx4 v[14:17], v[14:15], off
	;; [unrolled: 2-line block ×4, first 2 shown]
	global_load_dwordx4 v[26:29], v[50:51], off
	global_load_dwordx4 v[30:33], v[46:47], off
	;; [unrolled: 1-line block ×5, first 2 shown]
	s_add_i32 s0, s0, -1
	v_subrev_u32_e32 v1, s13, v1
	v_subrev_u32_e32 v2, s14, v2
	;; [unrolled: 1-line block ×6, first 2 shown]
	s_cmp_lg_u32 s0, 0
	s_waitcnt vmcnt(5)
	v_mul_f64 v[48:49], v[8:9], -v[24:25]
	v_mul_f64 v[8:9], v[8:9], v[22:23]
	s_waitcnt vmcnt(4)
	v_mul_f64 v[50:51], v[12:13], -v[28:29]
	v_mul_f64 v[12:13], v[12:13], v[26:27]
	s_waitcnt vmcnt(1)
	v_mul_f64 v[56:57], v[40:41], v[40:41]
	v_fmac_f64_e32 v[8:9], v[24:25], v[6:7]
	v_fmac_f64_e32 v[56:57], v[38:39], v[38:39]
	;; [unrolled: 1-line block ×4, first 2 shown]
	v_add_f64 v[8:9], v[32:33], -v[8:9]
	v_div_scale_f64 v[10:11], s[4:5], v[56:57], v[56:57], 1.0
	v_add_f64 v[8:9], v[8:9], -v[12:13]
	v_rcp_f64_e32 v[12:13], v[10:11]
	v_mul_f64 v[52:53], v[16:17], -v[36:37]
	v_mul_f64 v[16:17], v[16:17], v[34:35]
	v_fmac_f64_e32 v[48:49], v[22:23], v[6:7]
	s_waitcnt vmcnt(0)
	v_mul_f64 v[54:55], v[20:21], -v[44:45]
	v_mul_f64 v[20:21], v[20:21], v[42:43]
	v_fmac_f64_e32 v[16:17], v[36:37], v[14:15]
	v_add_f64 v[6:7], v[30:31], -v[48:49]
	v_fmac_f64_e32 v[52:53], v[34:35], v[14:15]
	v_fmac_f64_e32 v[20:21], v[44:45], v[18:19]
	v_add_f64 v[6:7], v[6:7], -v[50:51]
	v_add_f64 v[8:9], v[8:9], -v[16:17]
	v_fmac_f64_e32 v[54:55], v[42:43], v[18:19]
	v_add_f64 v[6:7], v[6:7], -v[52:53]
	v_add_f64 v[8:9], v[8:9], -v[20:21]
	v_fma_f64 v[20:21], -v[10:11], v[12:13], 1.0
	v_add_f64 v[6:7], v[6:7], -v[54:55]
	v_mul_f64 v[16:17], v[40:41], v[8:9]
	v_fmac_f64_e32 v[12:13], v[12:13], v[20:21]
	v_mul_f64 v[18:19], v[40:41], -v[6:7]
	v_fmac_f64_e32 v[16:17], v[6:7], v[38:39]
	v_fma_f64 v[6:7], -v[10:11], v[12:13], 1.0
	v_div_scale_f64 v[14:15], vcc, 1.0, v[56:57], 1.0
	v_fmac_f64_e32 v[12:13], v[12:13], v[6:7]
	v_mul_f64 v[6:7], v[14:15], v[12:13]
	v_fmac_f64_e32 v[18:19], v[8:9], v[38:39]
	v_fma_f64 v[8:9], -v[10:11], v[6:7], v[14:15]
	v_div_fmas_f64 v[6:7], v[8:9], v[12:13], v[6:7]
	v_div_fixup_f64 v[8:9], v[6:7], v[56:57], 1.0
	v_mul_f64 v[6:7], v[16:17], v[8:9]
	v_mul_f64 v[8:9], v[8:9], v[18:19]
	global_store_dwordx4 v[46:47], v[6:9], off
	s_cbranch_scc1 .LBB11_24
.LBB11_25:
	s_endpgm
	.section	.rodata,"a",@progbits
	.p2align	6, 0x0
	.amdhsa_kernel _ZN9rocsparseL39gpsv_interleaved_batch_givens_qr_kernelILj128E21rocsparse_complex_numIdEEEviiiPT0_S4_S4_S4_S4_S4_S4_S4_
		.amdhsa_group_segment_fixed_size 0
		.amdhsa_private_segment_fixed_size 0
		.amdhsa_kernarg_size 80
		.amdhsa_user_sgpr_count 2
		.amdhsa_user_sgpr_dispatch_ptr 0
		.amdhsa_user_sgpr_queue_ptr 0
		.amdhsa_user_sgpr_kernarg_segment_ptr 1
		.amdhsa_user_sgpr_dispatch_id 0
		.amdhsa_user_sgpr_kernarg_preload_length 0
		.amdhsa_user_sgpr_kernarg_preload_offset 0
		.amdhsa_user_sgpr_private_segment_size 0
		.amdhsa_uses_dynamic_stack 0
		.amdhsa_enable_private_segment 0
		.amdhsa_system_sgpr_workgroup_id_x 1
		.amdhsa_system_sgpr_workgroup_id_y 0
		.amdhsa_system_sgpr_workgroup_id_z 0
		.amdhsa_system_sgpr_workgroup_info 0
		.amdhsa_system_vgpr_workitem_id 0
		.amdhsa_next_free_vgpr 84
		.amdhsa_next_free_sgpr 36
		.amdhsa_accum_offset 84
		.amdhsa_reserve_vcc 1
		.amdhsa_float_round_mode_32 0
		.amdhsa_float_round_mode_16_64 0
		.amdhsa_float_denorm_mode_32 3
		.amdhsa_float_denorm_mode_16_64 3
		.amdhsa_dx10_clamp 1
		.amdhsa_ieee_mode 1
		.amdhsa_fp16_overflow 0
		.amdhsa_tg_split 0
		.amdhsa_exception_fp_ieee_invalid_op 0
		.amdhsa_exception_fp_denorm_src 0
		.amdhsa_exception_fp_ieee_div_zero 0
		.amdhsa_exception_fp_ieee_overflow 0
		.amdhsa_exception_fp_ieee_underflow 0
		.amdhsa_exception_fp_ieee_inexact 0
		.amdhsa_exception_int_div_zero 0
	.end_amdhsa_kernel
	.section	.text._ZN9rocsparseL39gpsv_interleaved_batch_givens_qr_kernelILj128E21rocsparse_complex_numIdEEEviiiPT0_S4_S4_S4_S4_S4_S4_S4_,"axG",@progbits,_ZN9rocsparseL39gpsv_interleaved_batch_givens_qr_kernelILj128E21rocsparse_complex_numIdEEEviiiPT0_S4_S4_S4_S4_S4_S4_S4_,comdat
.Lfunc_end11:
	.size	_ZN9rocsparseL39gpsv_interleaved_batch_givens_qr_kernelILj128E21rocsparse_complex_numIdEEEviiiPT0_S4_S4_S4_S4_S4_S4_S4_, .Lfunc_end11-_ZN9rocsparseL39gpsv_interleaved_batch_givens_qr_kernelILj128E21rocsparse_complex_numIdEEEviiiPT0_S4_S4_S4_S4_S4_S4_S4_
                                        ; -- End function
	.set _ZN9rocsparseL39gpsv_interleaved_batch_givens_qr_kernelILj128E21rocsparse_complex_numIdEEEviiiPT0_S4_S4_S4_S4_S4_S4_S4_.num_vgpr, 84
	.set _ZN9rocsparseL39gpsv_interleaved_batch_givens_qr_kernelILj128E21rocsparse_complex_numIdEEEviiiPT0_S4_S4_S4_S4_S4_S4_S4_.num_agpr, 0
	.set _ZN9rocsparseL39gpsv_interleaved_batch_givens_qr_kernelILj128E21rocsparse_complex_numIdEEEviiiPT0_S4_S4_S4_S4_S4_S4_S4_.numbered_sgpr, 36
	.set _ZN9rocsparseL39gpsv_interleaved_batch_givens_qr_kernelILj128E21rocsparse_complex_numIdEEEviiiPT0_S4_S4_S4_S4_S4_S4_S4_.num_named_barrier, 0
	.set _ZN9rocsparseL39gpsv_interleaved_batch_givens_qr_kernelILj128E21rocsparse_complex_numIdEEEviiiPT0_S4_S4_S4_S4_S4_S4_S4_.private_seg_size, 0
	.set _ZN9rocsparseL39gpsv_interleaved_batch_givens_qr_kernelILj128E21rocsparse_complex_numIdEEEviiiPT0_S4_S4_S4_S4_S4_S4_S4_.uses_vcc, 1
	.set _ZN9rocsparseL39gpsv_interleaved_batch_givens_qr_kernelILj128E21rocsparse_complex_numIdEEEviiiPT0_S4_S4_S4_S4_S4_S4_S4_.uses_flat_scratch, 0
	.set _ZN9rocsparseL39gpsv_interleaved_batch_givens_qr_kernelILj128E21rocsparse_complex_numIdEEEviiiPT0_S4_S4_S4_S4_S4_S4_S4_.has_dyn_sized_stack, 0
	.set _ZN9rocsparseL39gpsv_interleaved_batch_givens_qr_kernelILj128E21rocsparse_complex_numIdEEEviiiPT0_S4_S4_S4_S4_S4_S4_S4_.has_recursion, 0
	.set _ZN9rocsparseL39gpsv_interleaved_batch_givens_qr_kernelILj128E21rocsparse_complex_numIdEEEviiiPT0_S4_S4_S4_S4_S4_S4_S4_.has_indirect_call, 0
	.section	.AMDGPU.csdata,"",@progbits
; Kernel info:
; codeLenInByte = 6788
; TotalNumSgprs: 42
; NumVgprs: 84
; NumAgprs: 0
; TotalNumVgprs: 84
; ScratchSize: 0
; MemoryBound: 0
; FloatMode: 240
; IeeeMode: 1
; LDSByteSize: 0 bytes/workgroup (compile time only)
; SGPRBlocks: 5
; VGPRBlocks: 10
; NumSGPRsForWavesPerEU: 42
; NumVGPRsForWavesPerEU: 84
; AccumOffset: 84
; Occupancy: 5
; WaveLimiterHint : 0
; COMPUTE_PGM_RSRC2:SCRATCH_EN: 0
; COMPUTE_PGM_RSRC2:USER_SGPR: 2
; COMPUTE_PGM_RSRC2:TRAP_HANDLER: 0
; COMPUTE_PGM_RSRC2:TGID_X_EN: 1
; COMPUTE_PGM_RSRC2:TGID_Y_EN: 0
; COMPUTE_PGM_RSRC2:TGID_Z_EN: 0
; COMPUTE_PGM_RSRC2:TIDIG_COMP_CNT: 0
; COMPUTE_PGM_RSRC3_GFX90A:ACCUM_OFFSET: 20
; COMPUTE_PGM_RSRC3_GFX90A:TG_SPLIT: 0
	.section	.AMDGPU.gpr_maximums,"",@progbits
	.set amdgpu.max_num_vgpr, 0
	.set amdgpu.max_num_agpr, 0
	.set amdgpu.max_num_sgpr, 0
	.section	.AMDGPU.csdata,"",@progbits
	.type	__hip_cuid_e12c3ed5739c3871,@object ; @__hip_cuid_e12c3ed5739c3871
	.section	.bss,"aw",@nobits
	.globl	__hip_cuid_e12c3ed5739c3871
__hip_cuid_e12c3ed5739c3871:
	.byte	0                               ; 0x0
	.size	__hip_cuid_e12c3ed5739c3871, 1

	.ident	"AMD clang version 22.0.0git (https://github.com/RadeonOpenCompute/llvm-project roc-7.2.4 26084 f58b06dce1f9c15707c5f808fd002e18c2accf7e)"
	.section	".note.GNU-stack","",@progbits
	.addrsig
	.addrsig_sym __hip_cuid_e12c3ed5739c3871
	.amdgpu_metadata
---
amdhsa.kernels:
  - .agpr_count:     0
    .args:
      - .offset:         0
        .size:           4
        .value_kind:     by_value
      - .offset:         4
        .size:           4
        .value_kind:     by_value
      - .offset:         8
        .size:           4
        .value_kind:     by_value
      - .actual_access:  read_only
        .address_space:  global
        .offset:         16
        .size:           8
        .value_kind:     global_buffer
      - .actual_access:  write_only
        .address_space:  global
        .offset:         24
        .size:           8
        .value_kind:     global_buffer
      - .offset:         32
        .size:           4
        .value_kind:     hidden_block_count_x
      - .offset:         36
        .size:           4
        .value_kind:     hidden_block_count_y
      - .offset:         40
        .size:           4
        .value_kind:     hidden_block_count_z
      - .offset:         44
        .size:           2
        .value_kind:     hidden_group_size_x
      - .offset:         46
        .size:           2
        .value_kind:     hidden_group_size_y
      - .offset:         48
        .size:           2
        .value_kind:     hidden_group_size_z
      - .offset:         50
        .size:           2
        .value_kind:     hidden_remainder_x
      - .offset:         52
        .size:           2
        .value_kind:     hidden_remainder_y
      - .offset:         54
        .size:           2
        .value_kind:     hidden_remainder_z
      - .offset:         72
        .size:           8
        .value_kind:     hidden_global_offset_x
      - .offset:         80
        .size:           8
        .value_kind:     hidden_global_offset_y
      - .offset:         88
        .size:           8
        .value_kind:     hidden_global_offset_z
      - .offset:         96
        .size:           2
        .value_kind:     hidden_grid_dims
    .group_segment_fixed_size: 0
    .kernarg_segment_align: 8
    .kernarg_segment_size: 288
    .language:       OpenCL C
    .language_version:
      - 2
      - 0
    .max_flat_workgroup_size: 256
    .name:           _ZN9rocsparseL19gpsv_strided_gatherILj256EfEEviiiPKT0_PS1_
    .private_segment_fixed_size: 0
    .sgpr_count:     20
    .sgpr_spill_count: 0
    .symbol:         _ZN9rocsparseL19gpsv_strided_gatherILj256EfEEviiiPKT0_PS1_.kd
    .uniform_work_group_size: 1
    .uses_dynamic_stack: false
    .vgpr_count:     8
    .vgpr_spill_count: 0
    .wavefront_size: 64
  - .agpr_count:     0
    .args:
      - .offset:         0
        .size:           4
        .value_kind:     by_value
      - .offset:         4
        .size:           4
        .value_kind:     by_value
      - .offset:         8
        .size:           4
        .value_kind:     by_value
      - .address_space:  global
        .offset:         16
        .size:           8
        .value_kind:     global_buffer
      - .address_space:  global
        .offset:         24
        .size:           8
        .value_kind:     global_buffer
      - .address_space:  global
        .offset:         32
        .size:           8
        .value_kind:     global_buffer
      - .address_space:  global
        .offset:         40
        .size:           8
        .value_kind:     global_buffer
      - .address_space:  global
        .offset:         48
        .size:           8
        .value_kind:     global_buffer
      - .address_space:  global
        .offset:         56
        .size:           8
        .value_kind:     global_buffer
      - .address_space:  global
        .offset:         64
        .size:           8
        .value_kind:     global_buffer
      - .address_space:  global
        .offset:         72
        .size:           8
        .value_kind:     global_buffer
      - .address_space:  global
        .offset:         80
        .size:           8
        .value_kind:     global_buffer
      - .offset:         88
        .size:           4
        .value_kind:     hidden_block_count_x
      - .offset:         92
        .size:           4
        .value_kind:     hidden_block_count_y
      - .offset:         96
        .size:           4
        .value_kind:     hidden_block_count_z
      - .offset:         100
        .size:           2
        .value_kind:     hidden_group_size_x
      - .offset:         102
        .size:           2
        .value_kind:     hidden_group_size_y
      - .offset:         104
        .size:           2
        .value_kind:     hidden_group_size_z
      - .offset:         106
        .size:           2
        .value_kind:     hidden_remainder_x
      - .offset:         108
        .size:           2
        .value_kind:     hidden_remainder_y
      - .offset:         110
        .size:           2
        .value_kind:     hidden_remainder_z
      - .offset:         128
        .size:           8
        .value_kind:     hidden_global_offset_x
      - .offset:         136
        .size:           8
        .value_kind:     hidden_global_offset_y
      - .offset:         144
        .size:           8
        .value_kind:     hidden_global_offset_z
      - .offset:         152
        .size:           2
        .value_kind:     hidden_grid_dims
    .group_segment_fixed_size: 0
    .kernarg_segment_align: 8
    .kernarg_segment_size: 344
    .language:       OpenCL C
    .language_version:
      - 2
      - 0
    .max_flat_workgroup_size: 256
    .name:           _ZN9rocsparseL44gpsv_interleaved_batch_householder_qr_kernelILj256EfEEviiiPT0_S2_S2_S2_S2_S2_S2_S2_S2_
    .private_segment_fixed_size: 0
    .sgpr_count:     42
    .sgpr_spill_count: 0
    .symbol:         _ZN9rocsparseL44gpsv_interleaved_batch_householder_qr_kernelILj256EfEEviiiPT0_S2_S2_S2_S2_S2_S2_S2_S2_.kd
    .uniform_work_group_size: 1
    .uses_dynamic_stack: false
    .vgpr_count:     59
    .vgpr_spill_count: 0
    .wavefront_size: 64
  - .agpr_count:     0
    .args:
      - .offset:         0
        .size:           4
        .value_kind:     by_value
      - .offset:         4
        .size:           4
        .value_kind:     by_value
      - .offset:         8
        .size:           4
        .value_kind:     by_value
      - .actual_access:  read_only
        .address_space:  global
        .offset:         16
        .size:           8
        .value_kind:     global_buffer
      - .address_space:  global
        .offset:         24
        .size:           8
        .value_kind:     global_buffer
      - .address_space:  global
        .offset:         32
        .size:           8
        .value_kind:     global_buffer
      - .address_space:  global
        .offset:         40
        .size:           8
        .value_kind:     global_buffer
      - .address_space:  global
        .offset:         48
        .size:           8
        .value_kind:     global_buffer
      - .address_space:  global
        .offset:         56
        .size:           8
        .value_kind:     global_buffer
      - .address_space:  global
        .offset:         64
        .size:           8
        .value_kind:     global_buffer
      - .address_space:  global
        .offset:         72
        .size:           8
        .value_kind:     global_buffer
    .group_segment_fixed_size: 0
    .kernarg_segment_align: 8
    .kernarg_segment_size: 80
    .language:       OpenCL C
    .language_version:
      - 2
      - 0
    .max_flat_workgroup_size: 128
    .name:           _ZN9rocsparseL39gpsv_interleaved_batch_givens_qr_kernelILj128EfEEviiiPT0_S2_S2_S2_S2_S2_S2_S2_
    .private_segment_fixed_size: 0
    .sgpr_count:     32
    .sgpr_spill_count: 0
    .symbol:         _ZN9rocsparseL39gpsv_interleaved_batch_givens_qr_kernelILj128EfEEviiiPT0_S2_S2_S2_S2_S2_S2_S2_.kd
    .uniform_work_group_size: 1
    .uses_dynamic_stack: false
    .vgpr_count:     60
    .vgpr_spill_count: 0
    .wavefront_size: 64
  - .agpr_count:     0
    .args:
      - .offset:         0
        .size:           4
        .value_kind:     by_value
      - .offset:         4
        .size:           4
        .value_kind:     by_value
      - .offset:         8
        .size:           4
        .value_kind:     by_value
      - .actual_access:  read_only
        .address_space:  global
        .offset:         16
        .size:           8
        .value_kind:     global_buffer
      - .actual_access:  write_only
        .address_space:  global
        .offset:         24
        .size:           8
        .value_kind:     global_buffer
      - .offset:         32
        .size:           4
        .value_kind:     hidden_block_count_x
      - .offset:         36
        .size:           4
        .value_kind:     hidden_block_count_y
      - .offset:         40
        .size:           4
        .value_kind:     hidden_block_count_z
      - .offset:         44
        .size:           2
        .value_kind:     hidden_group_size_x
      - .offset:         46
        .size:           2
        .value_kind:     hidden_group_size_y
      - .offset:         48
        .size:           2
        .value_kind:     hidden_group_size_z
      - .offset:         50
        .size:           2
        .value_kind:     hidden_remainder_x
      - .offset:         52
        .size:           2
        .value_kind:     hidden_remainder_y
      - .offset:         54
        .size:           2
        .value_kind:     hidden_remainder_z
      - .offset:         72
        .size:           8
        .value_kind:     hidden_global_offset_x
      - .offset:         80
        .size:           8
        .value_kind:     hidden_global_offset_y
      - .offset:         88
        .size:           8
        .value_kind:     hidden_global_offset_z
      - .offset:         96
        .size:           2
        .value_kind:     hidden_grid_dims
    .group_segment_fixed_size: 0
    .kernarg_segment_align: 8
    .kernarg_segment_size: 288
    .language:       OpenCL C
    .language_version:
      - 2
      - 0
    .max_flat_workgroup_size: 256
    .name:           _ZN9rocsparseL19gpsv_strided_gatherILj256EdEEviiiPKT0_PS1_
    .private_segment_fixed_size: 0
    .sgpr_count:     16
    .sgpr_spill_count: 0
    .symbol:         _ZN9rocsparseL19gpsv_strided_gatherILj256EdEEviiiPKT0_PS1_.kd
    .uniform_work_group_size: 1
    .uses_dynamic_stack: false
    .vgpr_count:     8
    .vgpr_spill_count: 0
    .wavefront_size: 64
  - .agpr_count:     0
    .args:
      - .offset:         0
        .size:           4
        .value_kind:     by_value
      - .offset:         4
        .size:           4
        .value_kind:     by_value
      - .offset:         8
        .size:           4
        .value_kind:     by_value
      - .address_space:  global
        .offset:         16
        .size:           8
        .value_kind:     global_buffer
      - .address_space:  global
        .offset:         24
        .size:           8
        .value_kind:     global_buffer
      - .address_space:  global
        .offset:         32
        .size:           8
        .value_kind:     global_buffer
      - .address_space:  global
        .offset:         40
        .size:           8
        .value_kind:     global_buffer
      - .address_space:  global
        .offset:         48
        .size:           8
        .value_kind:     global_buffer
      - .address_space:  global
        .offset:         56
        .size:           8
        .value_kind:     global_buffer
      - .address_space:  global
        .offset:         64
        .size:           8
        .value_kind:     global_buffer
      - .address_space:  global
        .offset:         72
        .size:           8
        .value_kind:     global_buffer
      - .address_space:  global
        .offset:         80
        .size:           8
        .value_kind:     global_buffer
      - .offset:         88
        .size:           4
        .value_kind:     hidden_block_count_x
      - .offset:         92
        .size:           4
        .value_kind:     hidden_block_count_y
      - .offset:         96
        .size:           4
        .value_kind:     hidden_block_count_z
      - .offset:         100
        .size:           2
        .value_kind:     hidden_group_size_x
      - .offset:         102
        .size:           2
        .value_kind:     hidden_group_size_y
      - .offset:         104
        .size:           2
        .value_kind:     hidden_group_size_z
      - .offset:         106
        .size:           2
        .value_kind:     hidden_remainder_x
      - .offset:         108
        .size:           2
        .value_kind:     hidden_remainder_y
      - .offset:         110
        .size:           2
        .value_kind:     hidden_remainder_z
      - .offset:         128
        .size:           8
        .value_kind:     hidden_global_offset_x
      - .offset:         136
        .size:           8
        .value_kind:     hidden_global_offset_y
      - .offset:         144
        .size:           8
        .value_kind:     hidden_global_offset_z
      - .offset:         152
        .size:           2
        .value_kind:     hidden_grid_dims
    .group_segment_fixed_size: 0
    .kernarg_segment_align: 8
    .kernarg_segment_size: 344
    .language:       OpenCL C
    .language_version:
      - 2
      - 0
    .max_flat_workgroup_size: 256
    .name:           _ZN9rocsparseL44gpsv_interleaved_batch_householder_qr_kernelILj256EdEEviiiPT0_S2_S2_S2_S2_S2_S2_S2_S2_
    .private_segment_fixed_size: 0
    .sgpr_count:     38
    .sgpr_spill_count: 0
    .symbol:         _ZN9rocsparseL44gpsv_interleaved_batch_householder_qr_kernelILj256EdEEviiiPT0_S2_S2_S2_S2_S2_S2_S2_S2_.kd
    .uniform_work_group_size: 1
    .uses_dynamic_stack: false
    .vgpr_count:     70
    .vgpr_spill_count: 0
    .wavefront_size: 64
  - .agpr_count:     0
    .args:
      - .offset:         0
        .size:           4
        .value_kind:     by_value
      - .offset:         4
        .size:           4
        .value_kind:     by_value
      - .offset:         8
        .size:           4
        .value_kind:     by_value
      - .actual_access:  read_only
        .address_space:  global
        .offset:         16
        .size:           8
        .value_kind:     global_buffer
      - .address_space:  global
        .offset:         24
        .size:           8
        .value_kind:     global_buffer
      - .address_space:  global
        .offset:         32
        .size:           8
        .value_kind:     global_buffer
      - .address_space:  global
        .offset:         40
        .size:           8
        .value_kind:     global_buffer
      - .address_space:  global
        .offset:         48
        .size:           8
        .value_kind:     global_buffer
      - .address_space:  global
        .offset:         56
        .size:           8
        .value_kind:     global_buffer
      - .address_space:  global
        .offset:         64
        .size:           8
        .value_kind:     global_buffer
      - .address_space:  global
        .offset:         72
        .size:           8
        .value_kind:     global_buffer
    .group_segment_fixed_size: 0
    .kernarg_segment_align: 8
    .kernarg_segment_size: 80
    .language:       OpenCL C
    .language_version:
      - 2
      - 0
    .max_flat_workgroup_size: 128
    .name:           _ZN9rocsparseL39gpsv_interleaved_batch_givens_qr_kernelILj128EdEEviiiPT0_S2_S2_S2_S2_S2_S2_S2_
    .private_segment_fixed_size: 0
    .sgpr_count:     33
    .sgpr_spill_count: 0
    .symbol:         _ZN9rocsparseL39gpsv_interleaved_batch_givens_qr_kernelILj128EdEEviiiPT0_S2_S2_S2_S2_S2_S2_S2_.kd
    .uniform_work_group_size: 1
    .uses_dynamic_stack: false
    .vgpr_count:     64
    .vgpr_spill_count: 0
    .wavefront_size: 64
  - .agpr_count:     0
    .args:
      - .offset:         0
        .size:           4
        .value_kind:     by_value
      - .offset:         4
        .size:           4
        .value_kind:     by_value
      - .offset:         8
        .size:           4
        .value_kind:     by_value
      - .actual_access:  read_only
        .address_space:  global
        .offset:         16
        .size:           8
        .value_kind:     global_buffer
      - .actual_access:  write_only
        .address_space:  global
        .offset:         24
        .size:           8
        .value_kind:     global_buffer
      - .offset:         32
        .size:           4
        .value_kind:     hidden_block_count_x
      - .offset:         36
        .size:           4
        .value_kind:     hidden_block_count_y
      - .offset:         40
        .size:           4
        .value_kind:     hidden_block_count_z
      - .offset:         44
        .size:           2
        .value_kind:     hidden_group_size_x
      - .offset:         46
        .size:           2
        .value_kind:     hidden_group_size_y
      - .offset:         48
        .size:           2
        .value_kind:     hidden_group_size_z
      - .offset:         50
        .size:           2
        .value_kind:     hidden_remainder_x
      - .offset:         52
        .size:           2
        .value_kind:     hidden_remainder_y
      - .offset:         54
        .size:           2
        .value_kind:     hidden_remainder_z
      - .offset:         72
        .size:           8
        .value_kind:     hidden_global_offset_x
      - .offset:         80
        .size:           8
        .value_kind:     hidden_global_offset_y
      - .offset:         88
        .size:           8
        .value_kind:     hidden_global_offset_z
      - .offset:         96
        .size:           2
        .value_kind:     hidden_grid_dims
    .group_segment_fixed_size: 0
    .kernarg_segment_align: 8
    .kernarg_segment_size: 288
    .language:       OpenCL C
    .language_version:
      - 2
      - 0
    .max_flat_workgroup_size: 256
    .name:           _ZN9rocsparseL19gpsv_strided_gatherILj256E21rocsparse_complex_numIfEEEviiiPKT0_PS3_
    .private_segment_fixed_size: 0
    .sgpr_count:     16
    .sgpr_spill_count: 0
    .symbol:         _ZN9rocsparseL19gpsv_strided_gatherILj256E21rocsparse_complex_numIfEEEviiiPKT0_PS3_.kd
    .uniform_work_group_size: 1
    .uses_dynamic_stack: false
    .vgpr_count:     8
    .vgpr_spill_count: 0
    .wavefront_size: 64
  - .agpr_count:     0
    .args:
      - .offset:         0
        .size:           4
        .value_kind:     by_value
      - .offset:         4
        .size:           4
        .value_kind:     by_value
      - .offset:         8
        .size:           4
        .value_kind:     by_value
      - .address_space:  global
        .offset:         16
        .size:           8
        .value_kind:     global_buffer
      - .address_space:  global
        .offset:         24
        .size:           8
        .value_kind:     global_buffer
      - .address_space:  global
        .offset:         32
        .size:           8
        .value_kind:     global_buffer
      - .address_space:  global
        .offset:         40
        .size:           8
        .value_kind:     global_buffer
      - .address_space:  global
        .offset:         48
        .size:           8
        .value_kind:     global_buffer
      - .address_space:  global
        .offset:         56
        .size:           8
        .value_kind:     global_buffer
      - .address_space:  global
        .offset:         64
        .size:           8
        .value_kind:     global_buffer
      - .address_space:  global
        .offset:         72
        .size:           8
        .value_kind:     global_buffer
      - .address_space:  global
        .offset:         80
        .size:           8
        .value_kind:     global_buffer
      - .offset:         88
        .size:           4
        .value_kind:     hidden_block_count_x
      - .offset:         92
        .size:           4
        .value_kind:     hidden_block_count_y
      - .offset:         96
        .size:           4
        .value_kind:     hidden_block_count_z
      - .offset:         100
        .size:           2
        .value_kind:     hidden_group_size_x
      - .offset:         102
        .size:           2
        .value_kind:     hidden_group_size_y
      - .offset:         104
        .size:           2
        .value_kind:     hidden_group_size_z
      - .offset:         106
        .size:           2
        .value_kind:     hidden_remainder_x
      - .offset:         108
        .size:           2
        .value_kind:     hidden_remainder_y
      - .offset:         110
        .size:           2
        .value_kind:     hidden_remainder_z
      - .offset:         128
        .size:           8
        .value_kind:     hidden_global_offset_x
      - .offset:         136
        .size:           8
        .value_kind:     hidden_global_offset_y
      - .offset:         144
        .size:           8
        .value_kind:     hidden_global_offset_z
      - .offset:         152
        .size:           2
        .value_kind:     hidden_grid_dims
    .group_segment_fixed_size: 0
    .kernarg_segment_align: 8
    .kernarg_segment_size: 344
    .language:       OpenCL C
    .language_version:
      - 2
      - 0
    .max_flat_workgroup_size: 256
    .name:           _ZN9rocsparseL44gpsv_interleaved_batch_householder_qr_kernelILj256E21rocsparse_complex_numIfEEEviiiPT0_S4_S4_S4_S4_S4_S4_S4_S4_
    .private_segment_fixed_size: 0
    .sgpr_count:     40
    .sgpr_spill_count: 0
    .symbol:         _ZN9rocsparseL44gpsv_interleaved_batch_householder_qr_kernelILj256E21rocsparse_complex_numIfEEEviiiPT0_S4_S4_S4_S4_S4_S4_S4_S4_.kd
    .uniform_work_group_size: 1
    .uses_dynamic_stack: false
    .vgpr_count:     84
    .vgpr_spill_count: 0
    .wavefront_size: 64
  - .agpr_count:     0
    .args:
      - .offset:         0
        .size:           4
        .value_kind:     by_value
      - .offset:         4
        .size:           4
        .value_kind:     by_value
      - .offset:         8
        .size:           4
        .value_kind:     by_value
      - .actual_access:  read_only
        .address_space:  global
        .offset:         16
        .size:           8
        .value_kind:     global_buffer
      - .address_space:  global
        .offset:         24
        .size:           8
        .value_kind:     global_buffer
      - .address_space:  global
        .offset:         32
        .size:           8
        .value_kind:     global_buffer
      - .address_space:  global
        .offset:         40
        .size:           8
        .value_kind:     global_buffer
      - .address_space:  global
        .offset:         48
        .size:           8
        .value_kind:     global_buffer
      - .address_space:  global
        .offset:         56
        .size:           8
        .value_kind:     global_buffer
      - .address_space:  global
        .offset:         64
        .size:           8
        .value_kind:     global_buffer
      - .address_space:  global
        .offset:         72
        .size:           8
        .value_kind:     global_buffer
    .group_segment_fixed_size: 0
    .kernarg_segment_align: 8
    .kernarg_segment_size: 80
    .language:       OpenCL C
    .language_version:
      - 2
      - 0
    .max_flat_workgroup_size: 128
    .name:           _ZN9rocsparseL39gpsv_interleaved_batch_givens_qr_kernelILj128E21rocsparse_complex_numIfEEEviiiPT0_S4_S4_S4_S4_S4_S4_S4_
    .private_segment_fixed_size: 0
    .sgpr_count:     36
    .sgpr_spill_count: 0
    .symbol:         _ZN9rocsparseL39gpsv_interleaved_batch_givens_qr_kernelILj128E21rocsparse_complex_numIfEEEviiiPT0_S4_S4_S4_S4_S4_S4_S4_.kd
    .uniform_work_group_size: 1
    .uses_dynamic_stack: false
    .vgpr_count:     64
    .vgpr_spill_count: 0
    .wavefront_size: 64
  - .agpr_count:     0
    .args:
      - .offset:         0
        .size:           4
        .value_kind:     by_value
      - .offset:         4
        .size:           4
        .value_kind:     by_value
      - .offset:         8
        .size:           4
        .value_kind:     by_value
      - .actual_access:  read_only
        .address_space:  global
        .offset:         16
        .size:           8
        .value_kind:     global_buffer
      - .actual_access:  write_only
        .address_space:  global
        .offset:         24
        .size:           8
        .value_kind:     global_buffer
      - .offset:         32
        .size:           4
        .value_kind:     hidden_block_count_x
      - .offset:         36
        .size:           4
        .value_kind:     hidden_block_count_y
      - .offset:         40
        .size:           4
        .value_kind:     hidden_block_count_z
      - .offset:         44
        .size:           2
        .value_kind:     hidden_group_size_x
      - .offset:         46
        .size:           2
        .value_kind:     hidden_group_size_y
      - .offset:         48
        .size:           2
        .value_kind:     hidden_group_size_z
      - .offset:         50
        .size:           2
        .value_kind:     hidden_remainder_x
      - .offset:         52
        .size:           2
        .value_kind:     hidden_remainder_y
      - .offset:         54
        .size:           2
        .value_kind:     hidden_remainder_z
      - .offset:         72
        .size:           8
        .value_kind:     hidden_global_offset_x
      - .offset:         80
        .size:           8
        .value_kind:     hidden_global_offset_y
      - .offset:         88
        .size:           8
        .value_kind:     hidden_global_offset_z
      - .offset:         96
        .size:           2
        .value_kind:     hidden_grid_dims
    .group_segment_fixed_size: 0
    .kernarg_segment_align: 8
    .kernarg_segment_size: 288
    .language:       OpenCL C
    .language_version:
      - 2
      - 0
    .max_flat_workgroup_size: 256
    .name:           _ZN9rocsparseL19gpsv_strided_gatherILj256E21rocsparse_complex_numIdEEEviiiPKT0_PS3_
    .private_segment_fixed_size: 0
    .sgpr_count:     16
    .sgpr_spill_count: 0
    .symbol:         _ZN9rocsparseL19gpsv_strided_gatherILj256E21rocsparse_complex_numIdEEEviiiPKT0_PS3_.kd
    .uniform_work_group_size: 1
    .uses_dynamic_stack: false
    .vgpr_count:     10
    .vgpr_spill_count: 0
    .wavefront_size: 64
  - .agpr_count:     0
    .args:
      - .offset:         0
        .size:           4
        .value_kind:     by_value
      - .offset:         4
        .size:           4
        .value_kind:     by_value
      - .offset:         8
        .size:           4
        .value_kind:     by_value
      - .address_space:  global
        .offset:         16
        .size:           8
        .value_kind:     global_buffer
      - .address_space:  global
        .offset:         24
        .size:           8
        .value_kind:     global_buffer
      - .address_space:  global
        .offset:         32
        .size:           8
        .value_kind:     global_buffer
      - .address_space:  global
        .offset:         40
        .size:           8
        .value_kind:     global_buffer
      - .address_space:  global
        .offset:         48
        .size:           8
        .value_kind:     global_buffer
      - .address_space:  global
        .offset:         56
        .size:           8
        .value_kind:     global_buffer
      - .address_space:  global
        .offset:         64
        .size:           8
        .value_kind:     global_buffer
      - .address_space:  global
        .offset:         72
        .size:           8
        .value_kind:     global_buffer
      - .address_space:  global
        .offset:         80
        .size:           8
        .value_kind:     global_buffer
      - .offset:         88
        .size:           4
        .value_kind:     hidden_block_count_x
      - .offset:         92
        .size:           4
        .value_kind:     hidden_block_count_y
      - .offset:         96
        .size:           4
        .value_kind:     hidden_block_count_z
      - .offset:         100
        .size:           2
        .value_kind:     hidden_group_size_x
      - .offset:         102
        .size:           2
        .value_kind:     hidden_group_size_y
      - .offset:         104
        .size:           2
        .value_kind:     hidden_group_size_z
      - .offset:         106
        .size:           2
        .value_kind:     hidden_remainder_x
      - .offset:         108
        .size:           2
        .value_kind:     hidden_remainder_y
      - .offset:         110
        .size:           2
        .value_kind:     hidden_remainder_z
      - .offset:         128
        .size:           8
        .value_kind:     hidden_global_offset_x
      - .offset:         136
        .size:           8
        .value_kind:     hidden_global_offset_y
      - .offset:         144
        .size:           8
        .value_kind:     hidden_global_offset_z
      - .offset:         152
        .size:           2
        .value_kind:     hidden_grid_dims
    .group_segment_fixed_size: 0
    .kernarg_segment_align: 8
    .kernarg_segment_size: 344
    .language:       OpenCL C
    .language_version:
      - 2
      - 0
    .max_flat_workgroup_size: 256
    .name:           _ZN9rocsparseL44gpsv_interleaved_batch_householder_qr_kernelILj256E21rocsparse_complex_numIdEEEviiiPT0_S4_S4_S4_S4_S4_S4_S4_S4_
    .private_segment_fixed_size: 0
    .sgpr_count:     46
    .sgpr_spill_count: 0
    .symbol:         _ZN9rocsparseL44gpsv_interleaved_batch_householder_qr_kernelILj256E21rocsparse_complex_numIdEEEviiiPT0_S4_S4_S4_S4_S4_S4_S4_S4_.kd
    .uniform_work_group_size: 1
    .uses_dynamic_stack: false
    .vgpr_count:     146
    .vgpr_spill_count: 0
    .wavefront_size: 64
  - .agpr_count:     0
    .args:
      - .offset:         0
        .size:           4
        .value_kind:     by_value
      - .offset:         4
        .size:           4
        .value_kind:     by_value
      - .offset:         8
        .size:           4
        .value_kind:     by_value
      - .actual_access:  read_only
        .address_space:  global
        .offset:         16
        .size:           8
        .value_kind:     global_buffer
      - .address_space:  global
        .offset:         24
        .size:           8
        .value_kind:     global_buffer
      - .address_space:  global
        .offset:         32
        .size:           8
        .value_kind:     global_buffer
      - .address_space:  global
        .offset:         40
        .size:           8
        .value_kind:     global_buffer
      - .address_space:  global
        .offset:         48
        .size:           8
        .value_kind:     global_buffer
      - .address_space:  global
        .offset:         56
        .size:           8
        .value_kind:     global_buffer
      - .address_space:  global
        .offset:         64
        .size:           8
        .value_kind:     global_buffer
      - .address_space:  global
        .offset:         72
        .size:           8
        .value_kind:     global_buffer
    .group_segment_fixed_size: 0
    .kernarg_segment_align: 8
    .kernarg_segment_size: 80
    .language:       OpenCL C
    .language_version:
      - 2
      - 0
    .max_flat_workgroup_size: 128
    .name:           _ZN9rocsparseL39gpsv_interleaved_batch_givens_qr_kernelILj128E21rocsparse_complex_numIdEEEviiiPT0_S4_S4_S4_S4_S4_S4_S4_
    .private_segment_fixed_size: 0
    .sgpr_count:     42
    .sgpr_spill_count: 0
    .symbol:         _ZN9rocsparseL39gpsv_interleaved_batch_givens_qr_kernelILj128E21rocsparse_complex_numIdEEEviiiPT0_S4_S4_S4_S4_S4_S4_S4_.kd
    .uniform_work_group_size: 1
    .uses_dynamic_stack: false
    .vgpr_count:     84
    .vgpr_spill_count: 0
    .wavefront_size: 64
amdhsa.target:   amdgcn-amd-amdhsa--gfx950
amdhsa.version:
  - 1
  - 2
...

	.end_amdgpu_metadata
